;; amdgpu-corpus repo=ROCm/rocFFT kind=compiled arch=gfx1100 opt=O3
	.text
	.amdgcn_target "amdgcn-amd-amdhsa--gfx1100"
	.amdhsa_code_object_version 6
	.protected	fft_rtc_back_len208_factors_13_16_wgs_144_tpt_16_sp_ip_CI_sbcc_twdbase6_3step_dirReg_intrinsicReadWrite ; -- Begin function fft_rtc_back_len208_factors_13_16_wgs_144_tpt_16_sp_ip_CI_sbcc_twdbase6_3step_dirReg_intrinsicReadWrite
	.globl	fft_rtc_back_len208_factors_13_16_wgs_144_tpt_16_sp_ip_CI_sbcc_twdbase6_3step_dirReg_intrinsicReadWrite
	.p2align	8
	.type	fft_rtc_back_len208_factors_13_16_wgs_144_tpt_16_sp_ip_CI_sbcc_twdbase6_3step_dirReg_intrinsicReadWrite,@function
fft_rtc_back_len208_factors_13_16_wgs_144_tpt_16_sp_ip_CI_sbcc_twdbase6_3step_dirReg_intrinsicReadWrite: ; @fft_rtc_back_len208_factors_13_16_wgs_144_tpt_16_sp_ip_CI_sbcc_twdbase6_3step_dirReg_intrinsicReadWrite
; %bb.0:
	s_mov_b32 s16, s15
	s_clause 0x2
	s_load_b64 s[12:13], s[0:1], 0x58
	s_load_b64 s[14:15], s[0:1], 0x0
	s_load_b256 s[0:7], s[0:1], 0x8
	s_mov_b32 s8, exec_lo
	v_cmpx_gt_u32_e32 0xc0, v0
	s_cbranch_execz .LBB0_3
; %bb.1:
	v_lshlrev_b32_e32 v5, 3, v0
	v_add_co_u32 v1, s9, 0xffffff70, v0
	s_delay_alu instid0(VALU_DEP_1) | instskip(SKIP_1) | instid1(VALU_DEP_3)
	v_add_co_ci_u32_e64 v2, null, 0, -1, s9
	s_waitcnt lgkmcnt(0)
	v_add_co_u32 v3, s0, s0, v5
	s_delay_alu instid0(VALU_DEP_1)
	v_add_co_ci_u32_e64 v4, null, s1, 0, s0
	v_add3_u32 v5, v5, 0, 0x3a80
	s_mov_b32 s1, 0
	.p2align	6
.LBB0_2:                                ; =>This Inner Loop Header: Depth=1
	global_load_b64 v[6:7], v[3:4], off
	v_add_co_u32 v1, vcc_lo, 0x90, v1
	v_add_co_ci_u32_e32 v2, vcc_lo, 0, v2, vcc_lo
	v_add_co_u32 v3, vcc_lo, 0x480, v3
	v_add_co_ci_u32_e32 v4, vcc_lo, 0, v4, vcc_lo
	s_delay_alu instid0(VALU_DEP_3) | instskip(NEXT) | instid1(VALU_DEP_1)
	v_cmp_lt_u64_e64 s0, 47, v[1:2]
	s_or_b32 s1, s0, s1
	s_waitcnt vmcnt(0)
	ds_store_b64 v5, v[6:7]
	v_add_nc_u32_e32 v5, 0x480, v5
	s_and_not1_b32 exec_lo, exec_lo, s1
	s_cbranch_execnz .LBB0_2
.LBB0_3:
	s_or_b32 exec_lo, exec_lo, s8
	s_waitcnt lgkmcnt(0)
	s_load_b64 s[0:1], s[4:5], 0x8
	s_waitcnt lgkmcnt(0)
	s_add_u32 s8, s0, -1
	s_addc_u32 s9, s1, -1
	s_add_u32 s10, 0, 0x71c4fc00
	s_addc_u32 s11, 0, 0x7c
	s_mul_hi_u32 s18, s10, -9
	s_add_i32 s11, s11, 0x1c71c6a0
	s_sub_i32 s18, s18, s10
	s_mul_i32 s20, s11, -9
	s_mul_i32 s17, s10, -9
	s_add_i32 s18, s18, s20
	s_mul_hi_u32 s19, s10, s17
	s_mul_i32 s22, s10, s18
	s_mul_hi_u32 s20, s10, s18
	s_mul_hi_u32 s21, s11, s17
	s_mul_i32 s17, s11, s17
	s_add_u32 s19, s19, s22
	s_addc_u32 s20, 0, s20
	s_mul_hi_u32 s23, s11, s18
	s_add_u32 s17, s19, s17
	s_mul_i32 s18, s11, s18
	s_addc_u32 s17, s20, s21
	s_addc_u32 s19, s23, 0
	s_add_u32 s17, s17, s18
	s_delay_alu instid0(SALU_CYCLE_1) | instskip(SKIP_3) | instid1(VALU_DEP_1)
	v_add_co_u32 v1, s10, s10, s17
	s_addc_u32 s17, 0, s19
	s_cmp_lg_u32 s10, 0
	s_addc_u32 s10, s11, s17
	v_readfirstlane_b32 s11, v1
	s_mul_i32 s18, s8, s10
	s_mul_hi_u32 s17, s8, s10
	s_mul_hi_u32 s19, s9, s10
	s_mul_i32 s10, s9, s10
	s_mul_hi_u32 s20, s8, s11
	s_mul_hi_u32 s21, s9, s11
	s_mul_i32 s11, s9, s11
	s_add_u32 s18, s20, s18
	s_addc_u32 s17, 0, s17
	s_add_u32 s11, s18, s11
	s_addc_u32 s11, s17, s21
	s_addc_u32 s17, s19, 0
	s_add_u32 s10, s11, s10
	s_addc_u32 s11, 0, s17
	s_mul_i32 s18, s10, 9
	s_add_u32 s17, s10, 1
	v_sub_co_u32 v1, s8, s8, s18
	s_mul_hi_u32 s18, s10, 9
	s_addc_u32 s19, s11, 0
	s_mul_i32 s20, s11, 9
	s_delay_alu instid0(VALU_DEP_1)
	v_sub_co_u32 v2, s21, v1, 9
	s_add_u32 s22, s10, 2
	s_addc_u32 s23, s11, 0
	s_add_i32 s18, s18, s20
	s_cmp_lg_u32 s8, 0
	v_readfirstlane_b32 s8, v2
	s_subb_u32 s9, s9, s18
	s_cmp_lg_u32 s21, 0
	s_mov_b64 s[20:21], 0
	s_subb_u32 s18, s9, 0
	s_cmp_gt_u32 s8, 8
	s_cselect_b32 s8, -1, 0
	s_cmp_eq_u32 s18, 0
	v_readfirstlane_b32 s18, v1
	s_cselect_b32 s8, s8, -1
	s_delay_alu instid0(SALU_CYCLE_1)
	s_cmp_lg_u32 s8, 0
	s_cselect_b32 s8, s22, s17
	s_cselect_b32 s19, s23, s19
	s_cmp_gt_u32 s18, 8
	s_cselect_b32 s17, -1, 0
	s_cmp_eq_u32 s9, 0
	s_cselect_b32 s9, s17, -1
	s_mov_b32 s17, 0
	s_cmp_lg_u32 s9, 0
	s_cselect_b32 s8, s8, s10
	s_cselect_b32 s9, s19, s11
	s_add_u32 s18, s8, 1
	s_addc_u32 s19, s9, 0
	s_delay_alu instid0(SALU_CYCLE_1) | instskip(NEXT) | instid1(VALU_DEP_1)
	v_cmp_lt_u64_e64 s8, s[16:17], s[18:19]
	s_and_b32 vcc_lo, exec_lo, s8
	s_cbranch_vccnz .LBB0_5
; %bb.4:
	v_cvt_f32_u32_e32 v1, s18
	s_sub_i32 s9, 0, s18
	s_mov_b32 s21, s17
	s_delay_alu instid0(VALU_DEP_1) | instskip(SKIP_2) | instid1(VALU_DEP_1)
	v_rcp_iflag_f32_e32 v1, v1
	s_waitcnt_depctr 0xfff
	v_mul_f32_e32 v1, 0x4f7ffffe, v1
	v_cvt_u32_f32_e32 v1, v1
	s_delay_alu instid0(VALU_DEP_1) | instskip(NEXT) | instid1(VALU_DEP_1)
	v_readfirstlane_b32 s8, v1
	s_mul_i32 s9, s9, s8
	s_delay_alu instid0(SALU_CYCLE_1) | instskip(NEXT) | instid1(SALU_CYCLE_1)
	s_mul_hi_u32 s9, s8, s9
	s_add_i32 s8, s8, s9
	s_delay_alu instid0(SALU_CYCLE_1) | instskip(NEXT) | instid1(SALU_CYCLE_1)
	s_mul_hi_u32 s8, s16, s8
	s_mul_i32 s9, s8, s18
	s_add_i32 s10, s8, 1
	s_sub_i32 s9, s16, s9
	s_delay_alu instid0(SALU_CYCLE_1)
	s_sub_i32 s11, s9, s18
	s_cmp_ge_u32 s9, s18
	s_cselect_b32 s8, s10, s8
	s_cselect_b32 s9, s11, s9
	s_add_i32 s10, s8, 1
	s_cmp_ge_u32 s9, s18
	s_cselect_b32 s20, s10, s8
.LBB0_5:
	s_load_b128 s[8:11], s[6:7], 0x0
	s_waitcnt lgkmcnt(0)
	s_mul_i32 s9, s20, s19
	s_mul_hi_u32 s22, s20, s18
	s_mul_i32 s23, s20, s18
	s_add_i32 s22, s22, s9
	s_sub_u32 s33, s16, s23
	s_subb_u32 s9, 0, s22
	v_cmp_lt_u64_e64 s24, s[2:3], 3
	s_mul_hi_u32 s22, s33, 9
	s_mul_i32 s9, s9, 9
	s_mul_i32 s33, s33, 9
	s_add_i32 s9, s22, s9
	s_delay_alu instid0(VALU_DEP_1)
	s_and_b32 vcc_lo, exec_lo, s24
	s_mul_i32 s22, s10, s9
	s_mul_hi_u32 s23, s10, s33
	s_mul_i32 s24, s11, s33
	s_add_i32 s22, s23, s22
	s_mul_i32 s34, s10, s33
	s_add_i32 s35, s22, s24
	s_cbranch_vccnz .LBB0_15
; %bb.6:
	s_add_u32 s22, s6, 16
	s_addc_u32 s23, s7, 0
	s_add_u32 s4, s4, 16
	s_addc_u32 s5, s5, 0
	s_mov_b64 s[24:25], 2
	s_mov_b32 s26, 0
.LBB0_7:                                ; =>This Inner Loop Header: Depth=1
	s_load_b64 s[28:29], s[4:5], 0x0
	s_waitcnt lgkmcnt(0)
	s_or_b64 s[30:31], s[20:21], s[28:29]
	s_delay_alu instid0(SALU_CYCLE_1) | instskip(NEXT) | instid1(SALU_CYCLE_1)
	s_mov_b32 s27, s31
                                        ; implicit-def: $sgpr30_sgpr31
	s_cmp_lg_u64 s[26:27], 0
	s_mov_b32 s27, -1
	s_cbranch_scc0 .LBB0_9
; %bb.8:                                ;   in Loop: Header=BB0_7 Depth=1
	v_cvt_f32_u32_e32 v1, s28
	v_cvt_f32_u32_e32 v2, s29
	s_sub_u32 s31, 0, s28
	s_subb_u32 s36, 0, s29
	s_delay_alu instid0(VALU_DEP_1) | instskip(NEXT) | instid1(VALU_DEP_1)
	v_fmac_f32_e32 v1, 0x4f800000, v2
	v_rcp_f32_e32 v1, v1
	s_waitcnt_depctr 0xfff
	v_mul_f32_e32 v1, 0x5f7ffffc, v1
	s_delay_alu instid0(VALU_DEP_1) | instskip(NEXT) | instid1(VALU_DEP_1)
	v_mul_f32_e32 v2, 0x2f800000, v1
	v_trunc_f32_e32 v2, v2
	s_delay_alu instid0(VALU_DEP_1) | instskip(SKIP_1) | instid1(VALU_DEP_2)
	v_fmac_f32_e32 v1, 0xcf800000, v2
	v_cvt_u32_f32_e32 v2, v2
	v_cvt_u32_f32_e32 v1, v1
	s_delay_alu instid0(VALU_DEP_2) | instskip(NEXT) | instid1(VALU_DEP_2)
	v_readfirstlane_b32 s27, v2
	v_readfirstlane_b32 s30, v1
	s_delay_alu instid0(VALU_DEP_2) | instskip(NEXT) | instid1(VALU_DEP_1)
	s_mul_i32 s37, s31, s27
	s_mul_hi_u32 s39, s31, s30
	s_mul_i32 s38, s36, s30
	s_add_i32 s37, s39, s37
	s_mul_i32 s40, s31, s30
	s_add_i32 s37, s37, s38
	s_mul_hi_u32 s39, s30, s40
	s_mul_hi_u32 s41, s27, s40
	s_mul_i32 s38, s27, s40
	s_mul_hi_u32 s40, s30, s37
	s_mul_i32 s30, s30, s37
	s_mul_hi_u32 s42, s27, s37
	s_add_u32 s30, s39, s30
	s_addc_u32 s39, 0, s40
	s_add_u32 s30, s30, s38
	s_mul_i32 s37, s27, s37
	s_addc_u32 s30, s39, s41
	s_addc_u32 s38, s42, 0
	s_add_u32 s30, s30, s37
	s_addc_u32 s37, 0, s38
	v_add_co_u32 v1, s30, v1, s30
	s_delay_alu instid0(VALU_DEP_1) | instskip(SKIP_1) | instid1(VALU_DEP_1)
	s_cmp_lg_u32 s30, 0
	s_addc_u32 s27, s27, s37
	v_readfirstlane_b32 s30, v1
	s_mul_i32 s37, s31, s27
	s_delay_alu instid0(VALU_DEP_1)
	s_mul_hi_u32 s38, s31, s30
	s_mul_i32 s36, s36, s30
	s_add_i32 s37, s38, s37
	s_mul_i32 s31, s31, s30
	s_add_i32 s37, s37, s36
	s_mul_hi_u32 s38, s27, s31
	s_mul_i32 s39, s27, s31
	s_mul_hi_u32 s31, s30, s31
	s_mul_hi_u32 s40, s30, s37
	s_mul_i32 s30, s30, s37
	s_mul_hi_u32 s36, s27, s37
	s_add_u32 s30, s31, s30
	s_addc_u32 s31, 0, s40
	s_add_u32 s30, s30, s39
	s_mul_i32 s37, s27, s37
	s_addc_u32 s30, s31, s38
	s_addc_u32 s31, s36, 0
	s_add_u32 s30, s30, s37
	s_addc_u32 s31, 0, s31
	v_add_co_u32 v1, s30, v1, s30
	s_delay_alu instid0(VALU_DEP_1) | instskip(SKIP_1) | instid1(VALU_DEP_1)
	s_cmp_lg_u32 s30, 0
	s_addc_u32 s27, s27, s31
	v_readfirstlane_b32 s30, v1
	s_mul_i32 s36, s20, s27
	s_mul_hi_u32 s31, s20, s27
	s_mul_hi_u32 s37, s21, s27
	s_mul_i32 s27, s21, s27
	s_mul_hi_u32 s38, s20, s30
	s_mul_hi_u32 s39, s21, s30
	s_mul_i32 s30, s21, s30
	s_add_u32 s36, s38, s36
	s_addc_u32 s31, 0, s31
	s_add_u32 s30, s36, s30
	s_addc_u32 s30, s31, s39
	s_addc_u32 s31, s37, 0
	s_add_u32 s30, s30, s27
	s_addc_u32 s31, 0, s31
	s_mul_hi_u32 s27, s28, s30
	s_mul_i32 s37, s28, s31
	s_mul_i32 s38, s28, s30
	s_add_i32 s27, s27, s37
	v_sub_co_u32 v1, s37, s20, s38
	s_mul_i32 s36, s29, s30
	s_delay_alu instid0(SALU_CYCLE_1) | instskip(NEXT) | instid1(VALU_DEP_1)
	s_add_i32 s27, s27, s36
	v_sub_co_u32 v2, s38, v1, s28
	s_sub_i32 s36, s21, s27
	s_cmp_lg_u32 s37, 0
	s_subb_u32 s36, s36, s29
	s_cmp_lg_u32 s38, 0
	v_readfirstlane_b32 s38, v2
	s_subb_u32 s36, s36, 0
	s_delay_alu instid0(SALU_CYCLE_1) | instskip(SKIP_1) | instid1(VALU_DEP_1)
	s_cmp_ge_u32 s36, s29
	s_cselect_b32 s39, -1, 0
	s_cmp_ge_u32 s38, s28
	s_cselect_b32 s38, -1, 0
	s_cmp_eq_u32 s36, s29
	s_cselect_b32 s36, s38, s39
	s_add_u32 s38, s30, 1
	s_addc_u32 s39, s31, 0
	s_add_u32 s40, s30, 2
	s_addc_u32 s41, s31, 0
	s_cmp_lg_u32 s36, 0
	s_cselect_b32 s36, s40, s38
	s_cselect_b32 s38, s41, s39
	s_cmp_lg_u32 s37, 0
	v_readfirstlane_b32 s37, v1
	s_subb_u32 s27, s21, s27
	s_delay_alu instid0(SALU_CYCLE_1) | instskip(SKIP_1) | instid1(VALU_DEP_1)
	s_cmp_ge_u32 s27, s29
	s_cselect_b32 s39, -1, 0
	s_cmp_ge_u32 s37, s28
	s_cselect_b32 s37, -1, 0
	s_cmp_eq_u32 s27, s29
	s_cselect_b32 s27, s37, s39
	s_delay_alu instid0(SALU_CYCLE_1)
	s_cmp_lg_u32 s27, 0
	s_mov_b32 s27, 0
	s_cselect_b32 s31, s38, s31
	s_cselect_b32 s30, s36, s30
.LBB0_9:                                ;   in Loop: Header=BB0_7 Depth=1
	s_and_not1_b32 vcc_lo, exec_lo, s27
	s_cbranch_vccnz .LBB0_11
; %bb.10:                               ;   in Loop: Header=BB0_7 Depth=1
	v_cvt_f32_u32_e32 v1, s28
	s_sub_i32 s30, 0, s28
	s_waitcnt_depctr 0xfff
	v_rcp_iflag_f32_e32 v1, v1
	s_waitcnt_depctr 0xfff
	v_mul_f32_e32 v1, 0x4f7ffffe, v1
	s_delay_alu instid0(VALU_DEP_1) | instskip(NEXT) | instid1(VALU_DEP_1)
	v_cvt_u32_f32_e32 v1, v1
	v_readfirstlane_b32 s27, v1
	s_delay_alu instid0(VALU_DEP_1) | instskip(NEXT) | instid1(SALU_CYCLE_1)
	s_mul_i32 s30, s30, s27
	s_mul_hi_u32 s30, s27, s30
	s_delay_alu instid0(SALU_CYCLE_1) | instskip(NEXT) | instid1(SALU_CYCLE_1)
	s_add_i32 s27, s27, s30
	s_mul_hi_u32 s27, s20, s27
	s_delay_alu instid0(SALU_CYCLE_1) | instskip(SKIP_2) | instid1(SALU_CYCLE_1)
	s_mul_i32 s30, s27, s28
	s_add_i32 s31, s27, 1
	s_sub_i32 s30, s20, s30
	s_sub_i32 s36, s30, s28
	s_cmp_ge_u32 s30, s28
	s_cselect_b32 s27, s31, s27
	s_cselect_b32 s30, s36, s30
	s_add_i32 s31, s27, 1
	s_cmp_ge_u32 s30, s28
	s_cselect_b32 s30, s31, s27
	s_mov_b32 s31, s26
.LBB0_11:                               ;   in Loop: Header=BB0_7 Depth=1
	s_load_b64 s[36:37], s[22:23], 0x0
	s_mul_i32 s19, s28, s19
	s_mul_hi_u32 s27, s28, s18
	s_mul_i32 s38, s29, s18
	s_mul_i32 s29, s30, s29
	s_mul_hi_u32 s39, s30, s28
	s_mul_i32 s40, s31, s28
	s_add_i32 s19, s27, s19
	s_add_i32 s27, s39, s29
	s_mul_i32 s41, s30, s28
	s_add_i32 s19, s19, s38
	s_add_i32 s27, s27, s40
	s_sub_u32 s20, s20, s41
	s_subb_u32 s21, s21, s27
	s_mul_i32 s18, s28, s18
	s_waitcnt lgkmcnt(0)
	s_mul_i32 s21, s36, s21
	s_mul_hi_u32 s27, s36, s20
	s_delay_alu instid0(SALU_CYCLE_1)
	s_add_i32 s21, s27, s21
	s_mul_i32 s27, s37, s20
	s_mul_i32 s20, s36, s20
	s_add_i32 s21, s21, s27
	s_add_u32 s34, s20, s34
	s_addc_u32 s35, s21, s35
	s_add_u32 s24, s24, 1
	s_addc_u32 s25, s25, 0
	s_add_u32 s22, s22, 8
	v_cmp_ge_u64_e64 s20, s[24:25], s[2:3]
	s_addc_u32 s23, s23, 0
	s_add_u32 s4, s4, 8
	s_addc_u32 s5, s5, 0
	s_delay_alu instid0(VALU_DEP_1)
	s_and_b32 vcc_lo, exec_lo, s20
	s_cbranch_vccnz .LBB0_13
; %bb.12:                               ;   in Loop: Header=BB0_7 Depth=1
	s_mov_b64 s[20:21], s[30:31]
	s_branch .LBB0_7
.LBB0_13:
	v_cmp_lt_u64_e64 s4, s[16:17], s[18:19]
	s_mov_b64 s[20:21], 0
	s_delay_alu instid0(VALU_DEP_1)
	s_and_b32 vcc_lo, exec_lo, s4
	s_cbranch_vccnz .LBB0_15
; %bb.14:
	v_cvt_f32_u32_e32 v1, s18
	s_sub_i32 s5, 0, s18
	s_delay_alu instid0(VALU_DEP_1) | instskip(SKIP_2) | instid1(VALU_DEP_1)
	v_rcp_iflag_f32_e32 v1, v1
	s_waitcnt_depctr 0xfff
	v_mul_f32_e32 v1, 0x4f7ffffe, v1
	v_cvt_u32_f32_e32 v1, v1
	s_delay_alu instid0(VALU_DEP_1) | instskip(NEXT) | instid1(VALU_DEP_1)
	v_readfirstlane_b32 s4, v1
	s_mul_i32 s5, s5, s4
	s_delay_alu instid0(SALU_CYCLE_1) | instskip(NEXT) | instid1(SALU_CYCLE_1)
	s_mul_hi_u32 s5, s4, s5
	s_add_i32 s4, s4, s5
	s_delay_alu instid0(SALU_CYCLE_1) | instskip(NEXT) | instid1(SALU_CYCLE_1)
	s_mul_hi_u32 s4, s16, s4
	s_mul_i32 s5, s4, s18
	s_delay_alu instid0(SALU_CYCLE_1)
	s_sub_i32 s5, s16, s5
	s_add_i32 s16, s4, 1
	s_sub_i32 s17, s5, s18
	s_cmp_ge_u32 s5, s18
	s_cselect_b32 s4, s16, s4
	s_cselect_b32 s5, s17, s5
	s_add_i32 s16, s4, 1
	s_cmp_ge_u32 s5, s18
	s_cselect_b32 s20, s16, s4
.LBB0_15:
	s_lshl_b64 s[2:3], s[2:3], 3
	v_mul_hi_u32 v37, 0x1c71c71d, v0
	s_add_u32 s2, s6, s2
	s_addc_u32 s3, s7, s3
	v_dual_mov_b32 v16, 0 :: v_dual_mov_b32 v15, 0
	s_load_b64 s[2:3], s[2:3], 0x0
	s_delay_alu instid0(VALU_DEP_2) | instskip(NEXT) | instid1(VALU_DEP_1)
	v_mul_u32_u24_e32 v1, 9, v37
	v_sub_nc_u32_e32 v29, v0, v1
	s_delay_alu instid0(VALU_DEP_1) | instskip(SKIP_2) | instid1(VALU_DEP_1)
	v_mad_u64_u32 v[33:34], null, s10, v29, 0
	s_waitcnt lgkmcnt(0)
	v_add_co_u32 v35, s3, s33, v29
	v_add_co_ci_u32_e64 v36, null, s9, 0, s3
	s_mul_i32 s2, s2, s20
	s_delay_alu instid0(VALU_DEP_3)
	v_mov_b32_e32 v1, v34
	s_add_u32 s2, s2, s34
	s_add_u32 s4, s33, 9
	s_addc_u32 s5, s9, 0
	v_cmp_gt_u64_e32 vcc_lo, s[0:1], v[35:36]
	v_cmp_le_u64_e64 s3, s[4:5], s[0:1]
	v_mad_u64_u32 v[2:3], null, s11, v29, v[1:2]
	v_mov_b32_e32 v2, 0
	s_delay_alu instid0(VALU_DEP_3) | instskip(NEXT) | instid1(SALU_CYCLE_1)
	s_or_b32 s1, s3, vcc_lo
	s_and_saveexec_b32 s4, s1
	s_cbranch_execz .LBB0_17
; %bb.16:
	v_mul_lo_u32 v1, s8, v37
	s_delay_alu instid0(VALU_DEP_1) | instskip(NEXT) | instid1(VALU_DEP_1)
	v_add3_u32 v1, s2, v33, v1
	v_lshlrev_b64 v[3:4], 3, v[1:2]
	s_delay_alu instid0(VALU_DEP_1) | instskip(NEXT) | instid1(VALU_DEP_1)
	v_add_co_u32 v3, s0, s12, v3
	v_add_co_ci_u32_e64 v4, s0, s13, v4, s0
	global_load_b64 v[15:16], v[3:4], off
.LBB0_17:
	s_or_b32 exec_lo, exec_lo, s4
	v_mov_b32_e32 v1, 0
	s_and_saveexec_b32 s4, s1
	s_cbranch_execz .LBB0_19
; %bb.18:
	v_dual_mov_b32 v2, 0 :: v_dual_add_nc_u32 v1, 16, v37
	s_delay_alu instid0(VALU_DEP_1) | instskip(NEXT) | instid1(VALU_DEP_1)
	v_mul_lo_u32 v1, s8, v1
	v_add3_u32 v1, s2, v33, v1
	s_delay_alu instid0(VALU_DEP_1) | instskip(NEXT) | instid1(VALU_DEP_1)
	v_lshlrev_b64 v[1:2], 3, v[1:2]
	v_add_co_u32 v1, s0, s12, v1
	s_delay_alu instid0(VALU_DEP_1)
	v_add_co_ci_u32_e64 v2, s0, s13, v2, s0
	global_load_b64 v[1:2], v[1:2], off
.LBB0_19:
	s_or_b32 exec_lo, exec_lo, s4
	v_dual_mov_b32 v14, 0 :: v_dual_mov_b32 v19, 0
	v_mov_b32_e32 v20, 0
	s_and_saveexec_b32 s4, s1
	s_cbranch_execz .LBB0_21
; %bb.20:
	v_or_b32_e32 v3, 32, v37
	v_mov_b32_e32 v4, 0
	s_delay_alu instid0(VALU_DEP_2) | instskip(NEXT) | instid1(VALU_DEP_1)
	v_mul_lo_u32 v3, s8, v3
	v_add3_u32 v3, s2, v33, v3
	s_delay_alu instid0(VALU_DEP_1) | instskip(NEXT) | instid1(VALU_DEP_1)
	v_lshlrev_b64 v[3:4], 3, v[3:4]
	v_add_co_u32 v3, s0, s12, v3
	s_delay_alu instid0(VALU_DEP_1)
	v_add_co_ci_u32_e64 v4, s0, s13, v4, s0
	global_load_b64 v[19:20], v[3:4], off
.LBB0_21:
	s_or_b32 exec_lo, exec_lo, s4
	v_mov_b32_e32 v13, 0
	s_and_saveexec_b32 s4, s1
	s_cbranch_execz .LBB0_23
; %bb.22:
	v_dual_mov_b32 v4, 0 :: v_dual_add_nc_u32 v3, 48, v37
	s_delay_alu instid0(VALU_DEP_1) | instskip(NEXT) | instid1(VALU_DEP_1)
	v_mul_lo_u32 v3, s8, v3
	v_add3_u32 v3, s2, v33, v3
	s_delay_alu instid0(VALU_DEP_1) | instskip(NEXT) | instid1(VALU_DEP_1)
	v_lshlrev_b64 v[3:4], 3, v[3:4]
	v_add_co_u32 v3, s0, s12, v3
	s_delay_alu instid0(VALU_DEP_1)
	v_add_co_ci_u32_e64 v4, s0, s13, v4, s0
	global_load_b64 v[13:14], v[3:4], off
.LBB0_23:
	s_or_b32 exec_lo, exec_lo, s4
	v_dual_mov_b32 v8, 0 :: v_dual_mov_b32 v9, 0
	v_mov_b32_e32 v10, 0
	s_and_saveexec_b32 s4, s1
	s_cbranch_execz .LBB0_25
; %bb.24:
	v_or_b32_e32 v3, 64, v37
	v_mov_b32_e32 v4, 0
	s_delay_alu instid0(VALU_DEP_2) | instskip(NEXT) | instid1(VALU_DEP_1)
	v_mul_lo_u32 v3, s8, v3
	v_add3_u32 v3, s2, v33, v3
	s_delay_alu instid0(VALU_DEP_1) | instskip(NEXT) | instid1(VALU_DEP_1)
	v_lshlrev_b64 v[3:4], 3, v[3:4]
	v_add_co_u32 v3, s0, s12, v3
	s_delay_alu instid0(VALU_DEP_1)
	v_add_co_ci_u32_e64 v4, s0, s13, v4, s0
	global_load_b64 v[9:10], v[3:4], off
.LBB0_25:
	;; [unrolled: 34-line block ×5, first 2 shown]
	s_or_b32 exec_lo, exec_lo, s4
	v_mov_b32_e32 v23, 0
	s_and_saveexec_b32 s4, s1
	s_cbranch_execz .LBB0_39
; %bb.38:
	v_dual_mov_b32 v24, 0 :: v_dual_add_nc_u32 v23, 0xb0, v37
	s_delay_alu instid0(VALU_DEP_1) | instskip(NEXT) | instid1(VALU_DEP_1)
	v_mul_lo_u32 v23, s8, v23
	v_add3_u32 v23, s2, v33, v23
	s_delay_alu instid0(VALU_DEP_1) | instskip(NEXT) | instid1(VALU_DEP_1)
	v_lshlrev_b64 v[23:24], 3, v[23:24]
	v_add_co_u32 v23, s0, s12, v23
	s_delay_alu instid0(VALU_DEP_1)
	v_add_co_ci_u32_e64 v24, s0, s13, v24, s0
	global_load_b64 v[23:24], v[23:24], off
.LBB0_39:
	s_or_b32 exec_lo, exec_lo, s4
	v_dual_mov_b32 v26, 0 :: v_dual_mov_b32 v25, 0
	s_and_saveexec_b32 s4, s1
	s_cbranch_execz .LBB0_41
; %bb.40:
	v_or_b32_e32 v25, 0xc0, v37
	v_mov_b32_e32 v26, 0
	s_delay_alu instid0(VALU_DEP_2) | instskip(NEXT) | instid1(VALU_DEP_1)
	v_mul_lo_u32 v25, s8, v25
	v_add3_u32 v25, s2, v33, v25
	s_delay_alu instid0(VALU_DEP_1) | instskip(NEXT) | instid1(VALU_DEP_1)
	v_lshlrev_b64 v[25:26], 3, v[25:26]
	v_add_co_u32 v25, s0, s12, v25
	s_delay_alu instid0(VALU_DEP_1)
	v_add_co_ci_u32_e64 v26, s0, s13, v26, s0
	global_load_b64 v[25:26], v[25:26], off
.LBB0_41:
	s_or_b32 exec_lo, exec_lo, s4
	s_waitcnt vmcnt(0)
	v_dual_add_f32 v27, v15, v1 :: v_dual_add_f32 v28, v16, v2
	v_dual_add_f32 v30, v1, v25 :: v_dual_sub_f32 v31, v2, v26
	s_delay_alu instid0(VALU_DEP_2) | instskip(NEXT) | instid1(VALU_DEP_3)
	v_dual_sub_f32 v32, v1, v25 :: v_dual_add_f32 v27, v27, v19
	v_add_f32_e32 v28, v28, v20
	s_delay_alu instid0(VALU_DEP_3) | instskip(NEXT) | instid1(VALU_DEP_3)
	v_dual_add_f32 v34, v2, v26 :: v_dual_mul_f32 v39, 0xbf7e222b, v31
	v_dual_mul_f32 v1, 0xbeedf032, v31 :: v_dual_add_f32 v2, v27, v13
	s_delay_alu instid0(VALU_DEP_3) | instskip(NEXT) | instid1(VALU_DEP_3)
	v_dual_add_f32 v27, v28, v14 :: v_dual_mul_f32 v28, 0xbeedf032, v32
	v_fmamk_f32 v46, v30, 0x3df6dbef, v39
	v_fma_f32 v39, 0x3df6dbef, v30, -v39
	s_delay_alu instid0(VALU_DEP_4) | instskip(NEXT) | instid1(VALU_DEP_4)
	v_dual_add_f32 v2, v2, v9 :: v_dual_mul_f32 v41, 0xbf6f5d39, v31
	v_dual_add_f32 v27, v27, v10 :: v_dual_mul_f32 v36, 0xbf52af12, v31
	v_fma_f32 v43, 0x3f62ad3f, v34, -v28
	v_mul_f32_e32 v50, 0xbf29c268, v32
	s_mov_b32 s1, exec_lo
	s_delay_alu instid0(VALU_DEP_3) | instskip(NEXT) | instid1(VALU_DEP_3)
	v_add_f32_e32 v27, v27, v8
	v_dual_mul_f32 v38, 0xbf52af12, v32 :: v_dual_add_f32 v43, v16, v43
	v_add_f32_e32 v39, v15, v39
	v_mul_f32_e32 v49, 0xbf29c268, v31
	s_delay_alu instid0(VALU_DEP_4) | instskip(NEXT) | instid1(VALU_DEP_4)
	v_dual_add_f32 v27, v27, v6 :: v_dual_add_f32 v2, v2, v7
	v_fma_f32 v45, 0x3f116cb1, v34, -v38
	v_mul_f32_e32 v31, 0xbe750f2a, v31
	s_delay_alu instid0(VALU_DEP_4) | instskip(NEXT) | instid1(VALU_DEP_4)
	v_fmamk_f32 v51, v30, 0xbf3f9e67, v49
	v_dual_add_f32 v27, v27, v4 :: v_dual_add_f32 v2, v2, v5
	v_fmamk_f32 v42, v30, 0x3f62ad3f, v1
	v_fma_f32 v1, 0x3f62ad3f, v30, -v1
	s_delay_alu instid0(VALU_DEP_4) | instskip(NEXT) | instid1(VALU_DEP_4)
	v_add_f32_e32 v51, v15, v51
	v_dual_add_f32 v27, v27, v12 :: v_dual_add_f32 v2, v2, v3
	v_mul_f32_e32 v40, 0xbf7e222b, v32
	s_delay_alu instid0(VALU_DEP_4) | instskip(SKIP_1) | instid1(VALU_DEP_4)
	v_add_f32_e32 v48, v15, v1
	v_add_f32_e32 v42, v15, v42
	v_dual_add_f32 v27, v27, v18 :: v_dual_add_f32 v2, v2, v11
	s_delay_alu instid0(VALU_DEP_4)
	v_fma_f32 v47, 0x3df6dbef, v34, -v40
	v_sub_f32_e32 v54, v20, v24
	v_fma_f32 v49, 0xbf3f9e67, v30, -v49
	v_fmac_f32_e32 v40, 0x3df6dbef, v34
	v_add_f32_e32 v2, v2, v17
	v_fmac_f32_e32 v28, 0x3f62ad3f, v34
	s_delay_alu instid0(VALU_DEP_4) | instskip(SKIP_1) | instid1(VALU_DEP_4)
	v_dual_add_f32 v20, v20, v24 :: v_dual_add_f32 v49, v15, v49
	v_mul_f32_e32 v57, 0xbf52af12, v54
	v_add_f32_e32 v1, v2, v21
	v_fmamk_f32 v44, v30, 0x3f116cb1, v36
	v_fmac_f32_e32 v38, 0x3f116cb1, v34
	v_dual_add_f32 v2, v27, v22 :: v_dual_add_f32 v27, v16, v28
	s_delay_alu instid0(VALU_DEP_3) | instskip(SKIP_2) | instid1(VALU_DEP_3)
	v_dual_add_f32 v1, v1, v23 :: v_dual_add_f32 v28, v15, v44
	v_add_f32_e32 v44, v16, v45
	v_fma_f32 v36, 0x3f116cb1, v30, -v36
	v_dual_add_f32 v38, v16, v38 :: v_dual_add_f32 v1, v1, v25
	v_fmamk_f32 v25, v30, 0xbeb58ec6, v41
	v_dual_add_f32 v45, v15, v46 :: v_dual_add_f32 v46, v16, v47
	v_fma_f32 v41, 0xbeb58ec6, v30, -v41
	s_delay_alu instid0(VALU_DEP_3) | instskip(SKIP_2) | instid1(VALU_DEP_3)
	v_dual_add_f32 v2, v2, v24 :: v_dual_add_f32 v25, v15, v25
	v_add_f32_e32 v56, v19, v23
	v_dual_add_f32 v36, v15, v36 :: v_dual_fmamk_f32 v53, v30, 0xbf788fa5, v31
	v_dual_add_f32 v41, v15, v41 :: v_dual_add_f32 v2, v2, v26
	v_dual_mul_f32 v26, 0xbf6f5d39, v32 :: v_dual_sub_f32 v19, v19, v23
	v_fma_f32 v23, 0xbf788fa5, v30, -v31
	v_fmamk_f32 v24, v56, 0x3f116cb1, v57
	v_mul_f32_e32 v32, 0xbe750f2a, v32
	v_dual_add_f32 v40, v16, v40 :: v_dual_add_f32 v53, v15, v53
	s_delay_alu instid0(VALU_DEP_4) | instskip(NEXT) | instid1(VALU_DEP_4)
	v_add_f32_e32 v15, v15, v23
	v_add_f32_e32 v23, v24, v42
	s_delay_alu instid0(VALU_DEP_4) | instskip(SKIP_2) | instid1(VALU_DEP_3)
	v_fma_f32 v55, 0xbf788fa5, v34, -v32
	v_mul_f32_e32 v30, 0xbf52af12, v19
	v_fma_f32 v47, 0xbeb58ec6, v34, -v26
	v_add_f32_e32 v31, v16, v55
	v_fma_f32 v52, 0xbf3f9e67, v34, -v50
	v_fmac_f32_e32 v50, 0xbf3f9e67, v34
	v_fma_f32 v24, 0x3f116cb1, v20, -v30
	v_fmac_f32_e32 v30, 0x3f116cb1, v20
	v_fmac_f32_e32 v26, 0xbeb58ec6, v34
	v_add_f32_e32 v52, v16, v52
	v_dual_fmac_f32 v32, 0xbf788fa5, v34 :: v_dual_add_f32 v47, v16, v47
	v_fma_f32 v34, 0x3f116cb1, v56, -v57
	s_delay_alu instid0(VALU_DEP_4) | instskip(SKIP_1) | instid1(VALU_DEP_4)
	v_dual_add_f32 v27, v30, v27 :: v_dual_add_f32 v26, v16, v26
	v_dual_mul_f32 v55, 0x3f29c268, v19 :: v_dual_add_f32 v50, v16, v50
	v_add_f32_e32 v16, v16, v32
	v_mul_f32_e32 v32, 0xbf6f5d39, v54
	v_add_f32_e32 v24, v24, v43
	v_add_f32_e32 v34, v34, v48
	v_mul_f32_e32 v42, 0xbf6f5d39, v19
	v_mul_f32_e32 v48, 0xbe750f2a, v54
	v_fmamk_f32 v43, v56, 0xbeb58ec6, v32
	v_fma_f32 v32, 0xbeb58ec6, v56, -v32
	s_delay_alu instid0(VALU_DEP_4) | instskip(SKIP_1) | instid1(VALU_DEP_4)
	v_fma_f32 v30, 0xbeb58ec6, v20, -v42
	v_fmac_f32_e32 v42, 0xbeb58ec6, v20
	v_dual_add_f32 v28, v43, v28 :: v_dual_fmamk_f32 v43, v56, 0xbf788fa5, v48
	s_delay_alu instid0(VALU_DEP_4) | instskip(NEXT) | instid1(VALU_DEP_3)
	v_add_f32_e32 v32, v32, v36
	v_add_f32_e32 v36, v42, v38
	s_delay_alu instid0(VALU_DEP_3) | instskip(SKIP_1) | instid1(VALU_DEP_1)
	v_add_f32_e32 v42, v43, v45
	v_fma_f32 v45, 0xbf788fa5, v56, -v48
	v_add_f32_e32 v39, v45, v39
	v_dual_mul_f32 v45, 0x3f7e222b, v54 :: v_dual_add_f32 v30, v30, v44
	v_mul_f32_e32 v44, 0xbe750f2a, v19
	s_delay_alu instid0(VALU_DEP_1) | instskip(NEXT) | instid1(VALU_DEP_1)
	v_fma_f32 v43, 0xbf788fa5, v20, -v44
	v_dual_fmac_f32 v44, 0xbf788fa5, v20 :: v_dual_add_f32 v43, v43, v46
	s_delay_alu instid0(VALU_DEP_1) | instskip(SKIP_3) | instid1(VALU_DEP_3)
	v_add_f32_e32 v40, v44, v40
	v_fma_f32 v44, 0xbf3f9e67, v20, -v55
	v_mul_f32_e32 v46, 0x3f7e222b, v19
	v_mul_f32_e32 v19, 0x3eedf032, v19
	v_dual_fmac_f32 v55, 0xbf3f9e67, v20 :: v_dual_add_f32 v44, v44, v47
	v_fmamk_f32 v47, v56, 0x3df6dbef, v45
	s_delay_alu instid0(VALU_DEP_1) | instskip(NEXT) | instid1(VALU_DEP_1)
	v_dual_add_f32 v47, v47, v51 :: v_dual_mul_f32 v38, 0x3f29c268, v54
	v_fmamk_f32 v48, v56, 0xbf3f9e67, v38
	s_delay_alu instid0(VALU_DEP_1) | instskip(SKIP_3) | instid1(VALU_DEP_2)
	v_add_f32_e32 v25, v48, v25
	v_fma_f32 v38, 0xbf3f9e67, v56, -v38
	v_mul_f32_e32 v48, 0x3eedf032, v54
	v_fma_f32 v45, 0x3df6dbef, v56, -v45
	v_fmamk_f32 v51, v56, 0x3f62ad3f, v48
	s_delay_alu instid0(VALU_DEP_2)
	v_add_f32_e32 v45, v45, v49
	v_sub_f32_e32 v49, v14, v22
	v_add_f32_e32 v14, v14, v22
	v_add_f32_e32 v38, v38, v41
	v_fma_f32 v41, 0x3df6dbef, v20, -v46
	v_fmac_f32_e32 v46, 0x3df6dbef, v20
	s_delay_alu instid0(VALU_DEP_2) | instskip(SKIP_1) | instid1(VALU_DEP_3)
	v_add_f32_e32 v41, v41, v52
	v_add_f32_e32 v52, v13, v21
	v_dual_sub_f32 v13, v13, v21 :: v_dual_add_f32 v46, v46, v50
	v_add_f32_e32 v50, v51, v53
	v_fma_f32 v51, 0x3f62ad3f, v20, -v19
	v_mul_f32_e32 v53, 0xbf7e222b, v49
	v_fma_f32 v21, 0x3f62ad3f, v56, -v48
	v_fmac_f32_e32 v19, 0x3f62ad3f, v20
	s_delay_alu instid0(VALU_DEP_3) | instskip(NEXT) | instid1(VALU_DEP_3)
	v_dual_add_f32 v31, v51, v31 :: v_dual_fmamk_f32 v20, v52, 0x3df6dbef, v53
	v_dual_mul_f32 v22, 0xbf7e222b, v13 :: v_dual_add_f32 v15, v21, v15
	s_delay_alu instid0(VALU_DEP_3) | instskip(NEXT) | instid1(VALU_DEP_3)
	v_dual_add_f32 v16, v19, v16 :: v_dual_mul_f32 v21, 0xbe750f2a, v49
	v_add_f32_e32 v19, v20, v23
	s_delay_alu instid0(VALU_DEP_3) | instskip(SKIP_3) | instid1(VALU_DEP_4)
	v_fma_f32 v20, 0x3df6dbef, v14, -v22
	v_fma_f32 v23, 0x3df6dbef, v52, -v53
	v_fmac_f32_e32 v22, 0x3df6dbef, v14
	v_mul_f32_e32 v48, 0xbe750f2a, v13
	v_dual_mul_f32 v51, 0x3eedf032, v13 :: v_dual_add_f32 v20, v20, v24
	s_delay_alu instid0(VALU_DEP_4) | instskip(NEXT) | instid1(VALU_DEP_4)
	v_dual_add_f32 v23, v23, v34 :: v_dual_fmamk_f32 v24, v52, 0xbf788fa5, v21
	v_add_f32_e32 v22, v22, v27
	s_delay_alu instid0(VALU_DEP_4) | instskip(SKIP_1) | instid1(VALU_DEP_2)
	v_fma_f32 v27, 0xbf788fa5, v14, -v48
	v_fma_f32 v21, 0xbf788fa5, v52, -v21
	v_dual_add_f32 v24, v24, v28 :: v_dual_add_f32 v27, v27, v30
	s_delay_alu instid0(VALU_DEP_2) | instskip(SKIP_1) | instid1(VALU_DEP_2)
	v_dual_add_f32 v21, v21, v32 :: v_dual_fmac_f32 v48, 0xbf788fa5, v14
	v_mul_f32_e32 v30, 0x3f6f5d39, v13
	v_add_f32_e32 v32, v48, v36
	v_mul_f32_e32 v34, 0x3f6f5d39, v49
	s_delay_alu instid0(VALU_DEP_1) | instskip(SKIP_1) | instid1(VALU_DEP_2)
	v_fmamk_f32 v28, v52, 0xbeb58ec6, v34
	v_fma_f32 v34, 0xbeb58ec6, v52, -v34
	v_add_f32_e32 v28, v28, v42
	v_fma_f32 v42, 0xbeb58ec6, v14, -v30
	v_fmac_f32_e32 v30, 0xbeb58ec6, v14
	s_delay_alu instid0(VALU_DEP_4) | instskip(SKIP_1) | instid1(VALU_DEP_4)
	v_add_f32_e32 v34, v34, v39
	v_fma_f32 v39, 0x3f62ad3f, v14, -v51
	v_dual_fmac_f32 v51, 0x3f62ad3f, v14 :: v_dual_add_f32 v42, v42, v43
	s_delay_alu instid0(VALU_DEP_4) | instskip(SKIP_4) | instid1(VALU_DEP_4)
	v_add_f32_e32 v30, v30, v40
	v_mul_f32_e32 v36, 0x3eedf032, v49
	v_mul_f32_e32 v43, 0xbf52af12, v13
	v_dual_mul_f32 v40, 0xbf52af12, v49 :: v_dual_add_f32 v39, v39, v44
	v_mul_f32_e32 v13, 0xbf29c268, v13
	v_fmamk_f32 v48, v52, 0x3f62ad3f, v36
	v_fma_f32 v36, 0x3f62ad3f, v52, -v36
	s_delay_alu instid0(VALU_DEP_2) | instskip(NEXT) | instid1(VALU_DEP_2)
	v_add_f32_e32 v25, v48, v25
	v_add_f32_e32 v36, v36, v38
	v_fma_f32 v38, 0x3f116cb1, v14, -v43
	v_fmac_f32_e32 v43, 0x3f116cb1, v14
	v_mul_f32_e32 v48, 0xbf29c268, v49
	s_delay_alu instid0(VALU_DEP_2) | instskip(SKIP_2) | instid1(VALU_DEP_4)
	v_dual_add_f32 v38, v38, v41 :: v_dual_add_f32 v43, v43, v46
	v_fmamk_f32 v44, v52, 0x3f116cb1, v40
	v_fma_f32 v40, 0x3f116cb1, v52, -v40
	v_dual_add_f32 v26, v55, v26 :: v_dual_fmamk_f32 v41, v52, 0xbf3f9e67, v48
	s_delay_alu instid0(VALU_DEP_3) | instskip(NEXT) | instid1(VALU_DEP_3)
	v_add_f32_e32 v44, v44, v47
	v_dual_add_f32 v40, v40, v45 :: v_dual_sub_f32 v45, v10, v18
	v_add_f32_e32 v47, v9, v17
	v_sub_f32_e32 v9, v9, v17
	v_fma_f32 v17, 0xbf3f9e67, v52, -v48
	s_delay_alu instid0(VALU_DEP_4) | instskip(SKIP_2) | instid1(VALU_DEP_4)
	v_dual_add_f32 v10, v10, v18 :: v_dual_mul_f32 v49, 0xbf6f5d39, v45
	v_fma_f32 v46, 0xbf3f9e67, v14, -v13
	v_fmac_f32_e32 v13, 0xbf3f9e67, v14
	v_dual_mul_f32 v18, 0xbf6f5d39, v9 :: v_dual_add_f32 v15, v17, v15
	s_delay_alu instid0(VALU_DEP_3) | instskip(NEXT) | instid1(VALU_DEP_3)
	v_dual_fmamk_f32 v14, v47, 0xbeb58ec6, v49 :: v_dual_add_f32 v31, v46, v31
	v_add_f32_e32 v13, v13, v16
	s_delay_alu instid0(VALU_DEP_3) | instskip(NEXT) | instid1(VALU_DEP_3)
	v_fma_f32 v16, 0xbeb58ec6, v10, -v18
	v_dual_mul_f32 v17, 0x3f29c268, v45 :: v_dual_add_f32 v14, v14, v19
	v_fma_f32 v19, 0xbeb58ec6, v47, -v49
	v_fmac_f32_e32 v18, 0xbeb58ec6, v10
	v_mul_f32_e32 v46, 0x3f29c268, v9
	v_add_f32_e32 v16, v16, v20
	v_fmamk_f32 v20, v47, 0xbf3f9e67, v17
	v_add_f32_e32 v19, v19, v23
	v_dual_mul_f32 v23, 0x3eedf032, v45 :: v_dual_add_f32 v18, v18, v22
	v_fma_f32 v22, 0xbf3f9e67, v10, -v46
	v_mul_f32_e32 v48, 0xbf7e222b, v9
	v_fma_f32 v17, 0xbf3f9e67, v47, -v17
	s_delay_alu instid0(VALU_DEP_3) | instskip(SKIP_3) | instid1(VALU_DEP_2)
	v_dual_add_f32 v41, v41, v50 :: v_dual_add_f32 v22, v22, v27
	v_dual_mul_f32 v27, 0x3eedf032, v9 :: v_dual_add_f32 v20, v20, v24
	v_fmamk_f32 v24, v47, 0x3f62ad3f, v23
	v_fma_f32 v23, 0x3f62ad3f, v47, -v23
	v_dual_add_f32 v17, v17, v21 :: v_dual_add_f32 v24, v24, v28
	s_delay_alu instid0(VALU_DEP_4) | instskip(SKIP_1) | instid1(VALU_DEP_4)
	v_fma_f32 v28, 0x3f62ad3f, v10, -v27
	v_fmac_f32_e32 v27, 0x3f62ad3f, v10
	v_dual_add_f32 v23, v23, v34 :: v_dual_mul_f32 v34, 0x3e750f2a, v45
	s_delay_alu instid0(VALU_DEP_2) | instskip(SKIP_1) | instid1(VALU_DEP_1)
	v_add_f32_e32 v27, v27, v30
	v_fma_f32 v30, 0x3df6dbef, v10, -v48
	v_dual_add_f32 v30, v30, v39 :: v_dual_fmamk_f32 v39, v47, 0xbf788fa5, v34
	v_add_f32_e32 v28, v28, v42
	v_mul_f32_e32 v42, 0x3e750f2a, v9
	v_fma_f32 v34, 0xbf788fa5, v47, -v34
	v_mul_f32_e32 v9, 0x3f52af12, v9
	v_dual_add_f32 v39, v39, v44 :: v_dual_fmac_f32 v46, 0xbf3f9e67, v10
	s_delay_alu instid0(VALU_DEP_3) | instskip(SKIP_2) | instid1(VALU_DEP_4)
	v_add_f32_e32 v34, v34, v40
	v_sub_f32_e32 v40, v8, v12
	v_add_f32_e32 v8, v8, v12
	v_dual_add_f32 v21, v46, v32 :: v_dual_mul_f32 v32, 0xbf7e222b, v45
	v_mul_f32_e32 v45, 0x3f52af12, v45
	s_delay_alu instid0(VALU_DEP_4) | instskip(NEXT) | instid1(VALU_DEP_3)
	v_mul_f32_e32 v44, 0xbf29c268, v40
	v_fmamk_f32 v46, v47, 0x3df6dbef, v32
	v_fma_f32 v32, 0x3df6dbef, v47, -v32
	s_delay_alu instid0(VALU_DEP_1) | instskip(SKIP_2) | instid1(VALU_DEP_2)
	v_dual_add_f32 v25, v46, v25 :: v_dual_add_f32 v32, v32, v36
	v_fma_f32 v36, 0xbf788fa5, v10, -v42
	v_fmac_f32_e32 v42, 0xbf788fa5, v10
	v_add_f32_e32 v36, v36, v38
	v_fmamk_f32 v38, v47, 0x3f116cb1, v45
	s_delay_alu instid0(VALU_DEP_3)
	v_add_f32_e32 v42, v42, v43
	v_add_f32_e32 v43, v7, v11
	v_sub_f32_e32 v7, v7, v11
	v_fma_f32 v11, 0x3f116cb1, v47, -v45
	v_add_f32_e32 v38, v38, v41
	v_fma_f32 v41, 0x3f116cb1, v10, -v9
	v_fmac_f32_e32 v9, 0x3f116cb1, v10
	v_mul_f32_e32 v12, 0xbf29c268, v7
	v_add_f32_e32 v26, v51, v26
	v_add_f32_e32 v11, v11, v15
	;; [unrolled: 1-line block ×4, first 2 shown]
	v_fma_f32 v13, 0xbf3f9e67, v8, -v12
	v_fmac_f32_e32 v12, 0xbf3f9e67, v8
	v_mul_f32_e32 v41, 0x3f7e222b, v7
	v_fma_f32 v15, 0xbf3f9e67, v43, -v44
	s_delay_alu instid0(VALU_DEP_3) | instskip(NEXT) | instid1(VALU_DEP_3)
	v_dual_add_f32 v13, v13, v16 :: v_dual_add_f32 v12, v12, v18
	v_fma_f32 v18, 0x3df6dbef, v8, -v41
	v_dual_fmac_f32 v41, 0x3df6dbef, v8 :: v_dual_fmac_f32 v48, 0x3df6dbef, v10
	v_fmamk_f32 v10, v43, 0xbf3f9e67, v44
	v_add_f32_e32 v15, v15, v19
	s_delay_alu instid0(VALU_DEP_4) | instskip(SKIP_1) | instid1(VALU_DEP_4)
	v_dual_mul_f32 v19, 0xbf52af12, v40 :: v_dual_add_f32 v18, v18, v22
	v_mul_f32_e32 v22, 0xbf52af12, v7
	v_add_f32_e32 v10, v10, v14
	v_mul_f32_e32 v14, 0x3f7e222b, v40
	v_dual_mul_f32 v44, 0x3e750f2a, v7 :: v_dual_add_f32 v21, v41, v21
	s_delay_alu instid0(VALU_DEP_2) | instskip(SKIP_1) | instid1(VALU_DEP_2)
	v_fmamk_f32 v16, v43, 0x3df6dbef, v14
	v_fma_f32 v14, 0x3df6dbef, v43, -v14
	v_add_f32_e32 v16, v16, v20
	v_fmamk_f32 v20, v43, 0x3f116cb1, v19
	v_fma_f32 v19, 0x3f116cb1, v43, -v19
	s_delay_alu instid0(VALU_DEP_4) | instskip(NEXT) | instid1(VALU_DEP_3)
	v_dual_add_f32 v14, v14, v17 :: v_dual_mul_f32 v17, 0x3e750f2a, v40
	v_add_f32_e32 v20, v20, v24
	v_fma_f32 v24, 0x3f116cb1, v8, -v22
	s_delay_alu instid0(VALU_DEP_4) | instskip(SKIP_2) | instid1(VALU_DEP_3)
	v_dual_fmac_f32 v22, 0x3f116cb1, v8 :: v_dual_add_f32 v45, v19, v23
	v_fma_f32 v19, 0xbf788fa5, v8, -v44
	v_mul_f32_e32 v23, 0x3eedf032, v40
	v_dual_fmamk_f32 v41, v43, 0xbf788fa5, v17 :: v_dual_add_f32 v22, v22, v27
	v_fma_f32 v17, 0xbf788fa5, v43, -v17
	s_delay_alu instid0(VALU_DEP_4) | instskip(NEXT) | instid1(VALU_DEP_4)
	v_add_f32_e32 v27, v19, v30
	v_fmamk_f32 v19, v43, 0x3f62ad3f, v23
	s_delay_alu instid0(VALU_DEP_4) | instskip(NEXT) | instid1(VALU_DEP_4)
	v_dual_fmac_f32 v44, 0xbf788fa5, v8 :: v_dual_add_f32 v25, v41, v25
	v_add_f32_e32 v30, v17, v32
	s_delay_alu instid0(VALU_DEP_3) | instskip(SKIP_3) | instid1(VALU_DEP_2)
	v_dual_mul_f32 v32, 0xbf6f5d39, v40 :: v_dual_add_f32 v39, v19, v39
	v_fma_f32 v19, 0x3f62ad3f, v43, -v23
	v_sub_f32_e32 v40, v6, v4
	v_add_f32_e32 v26, v48, v26
	v_dual_add_f32 v34, v19, v34 :: v_dual_mul_f32 v19, 0xbe750f2a, v40
	v_add_f32_e32 v28, v24, v28
	v_mul_f32_e32 v24, 0x3eedf032, v7
	s_delay_alu instid0(VALU_DEP_4) | instskip(SKIP_1) | instid1(VALU_DEP_3)
	v_dual_add_f32 v26, v44, v26 :: v_dual_mul_f32 v7, 0xbf6f5d39, v7
	v_sub_f32_e32 v44, v5, v3
	v_fma_f32 v17, 0x3f62ad3f, v8, -v24
	v_fmac_f32_e32 v24, 0x3f62ad3f, v8
	s_delay_alu instid0(VALU_DEP_2) | instskip(NEXT) | instid1(VALU_DEP_2)
	v_dual_add_f32 v36, v17, v36 :: v_dual_fmamk_f32 v17, v43, 0xbeb58ec6, v32
	v_dual_add_f32 v41, v24, v42 :: v_dual_add_f32 v42, v5, v3
	v_fma_f32 v3, 0xbeb58ec6, v43, -v32
	s_delay_alu instid0(VALU_DEP_3)
	v_add_f32_e32 v38, v17, v38
	v_fma_f32 v17, 0xbeb58ec6, v8, -v7
	v_fmac_f32_e32 v7, 0xbeb58ec6, v8
	v_add_f32_e32 v8, v6, v4
	v_fmamk_f32 v4, v42, 0xbf788fa5, v19
	v_mul_f32_e32 v6, 0xbe750f2a, v44
	v_add_f32_e32 v32, v3, v11
	v_add_f32_e32 v43, v7, v9
	v_mul_f32_e32 v7, 0x3eedf032, v40
	v_add_f32_e32 v3, v4, v10
	v_fma_f32 v4, 0xbf788fa5, v8, -v6
	v_dual_fmac_f32 v6, 0xbf788fa5, v8 :: v_dual_add_f32 v31, v17, v31
	s_delay_alu instid0(VALU_DEP_4) | instskip(NEXT) | instid1(VALU_DEP_3)
	v_fmamk_f32 v10, v42, 0x3f62ad3f, v7
	v_dual_mul_f32 v9, 0x3eedf032, v44 :: v_dual_add_f32 v4, v4, v13
	v_mul_f32_e32 v13, 0x3f52af12, v44
	s_delay_alu instid0(VALU_DEP_4)
	v_add_f32_e32 v6, v6, v12
	v_mul_f32_e32 v12, 0xbf29c268, v40
	v_add_f32_e32 v17, v10, v16
	v_fma_f32 v5, 0xbf788fa5, v42, -v19
	v_fma_f32 v11, 0x3f62ad3f, v8, -v9
	;; [unrolled: 1-line block ×3, first 2 shown]
	v_fmamk_f32 v10, v42, 0xbf3f9e67, v12
	v_fmac_f32_e32 v9, 0x3f62ad3f, v8
	s_delay_alu instid0(VALU_DEP_4) | instskip(SKIP_1) | instid1(VALU_DEP_4)
	v_dual_add_f32 v5, v5, v15 :: v_dual_add_f32 v18, v11, v18
	v_mul_f32_e32 v11, 0xbf29c268, v44
	v_add_f32_e32 v19, v10, v20
	v_fma_f32 v10, 0xbf3f9e67, v42, -v12
	v_add_f32_e32 v24, v9, v21
	s_delay_alu instid0(VALU_DEP_4) | instskip(SKIP_1) | instid1(VALU_DEP_4)
	v_fma_f32 v9, 0xbf3f9e67, v8, -v11
	v_fmac_f32_e32 v11, 0xbf3f9e67, v8
	v_add_f32_e32 v21, v10, v45
	v_fma_f32 v10, 0x3f116cb1, v8, -v13
	v_fmac_f32_e32 v13, 0x3f116cb1, v8
	v_add_f32_e32 v23, v7, v14
	v_mul_f32_e32 v7, 0x3f52af12, v40
	v_add_f32_e32 v20, v9, v28
	v_mul_f32_e32 v14, 0xbf6f5d39, v44
	v_mul_f32_e32 v28, 0x3f7e222b, v44
	v_add_f32_e32 v10, v10, v27
	v_fmamk_f32 v12, v42, 0x3f116cb1, v7
	v_fma_f32 v7, 0x3f116cb1, v42, -v7
	v_add_f32_e32 v16, v13, v26
	v_fma_f32 v27, 0x3df6dbef, v8, -v28
	s_delay_alu instid0(VALU_DEP_4)
	v_dual_fmac_f32 v28, 0x3df6dbef, v8 :: v_dual_add_f32 v9, v12, v25
	v_dual_mul_f32 v25, 0x3f7e222b, v40 :: v_dual_add_f32 v22, v11, v22
	v_mul_f32_e32 v11, 0xbf6f5d39, v40
	v_add_f32_e32 v15, v7, v30
	v_fma_f32 v7, 0xbeb58ec6, v8, -v14
	v_fmac_f32_e32 v14, 0xbeb58ec6, v8
	v_fmamk_f32 v26, v42, 0x3df6dbef, v25
	v_fmamk_f32 v12, v42, 0xbeb58ec6, v11
	v_fma_f32 v13, 0xbeb58ec6, v42, -v11
	v_fma_f32 v30, 0x3df6dbef, v42, -v25
	s_delay_alu instid0(VALU_DEP_4) | instskip(NEXT) | instid1(VALU_DEP_4)
	v_dual_add_f32 v28, v28, v43 :: v_dual_add_f32 v25, v26, v38
	v_dual_add_f32 v11, v12, v39 :: v_dual_add_f32 v12, v7, v36
	v_mad_u32_u24 v7, 0x3a8, v37, 0
	v_dual_add_f32 v13, v13, v34 :: v_dual_add_f32 v26, v27, v31
	v_add_f32_e32 v27, v30, v32
	v_add_f32_e32 v14, v14, v41
	s_delay_alu instid0(VALU_DEP_4)
	v_lshl_add_u32 v8, v29, 3, v7
	ds_store_2addr_b64 v8, v[1:2], v[3:4] offset1:9
	ds_store_2addr_b64 v8, v[17:18], v[19:20] offset0:18 offset1:27
	ds_store_2addr_b64 v8, v[9:10], v[11:12] offset0:36 offset1:45
	;; [unrolled: 1-line block ×5, first 2 shown]
	ds_store_b64 v8, v[5:6] offset:864
	s_waitcnt lgkmcnt(0)
	s_barrier
	buffer_gl0_inv
                                        ; implicit-def: $vgpr30
	v_cmpx_gt_u32_e32 0x75, v0
	s_cbranch_execz .LBB0_43
; %bb.42:
	v_mul_i32_i24_e32 v1, 0xfffffca0, v37
	v_lshlrev_b32_e32 v2, 3, v29
	s_delay_alu instid0(VALU_DEP_1) | instskip(NEXT) | instid1(VALU_DEP_1)
	v_add3_u32 v5, v7, v1, v2
	v_add_nc_u32_e32 v6, 0x400, v5
	v_add_nc_u32_e32 v7, 0xc00, v5
	;; [unrolled: 1-line block ×7, first 2 shown]
	ds_load_2addr_b64 v[1:4], v5 offset1:117
	ds_load_2addr_b64 v[17:20], v6 offset0:106 offset1:223
	ds_load_2addr_b64 v[9:12], v7 offset0:84 offset1:201
	;; [unrolled: 1-line block ×7, first 2 shown]
.LBB0_43:
	s_or_b32 exec_lo, exec_lo, s1
	v_cmp_gt_u32_e64 s1, 0x75, v0
	v_cmp_lt_u32_e64 s0, 0x74, v0
	v_cndmask_b32_e64 v36, 0, 1, vcc_lo
	s_delay_alu instid0(VALU_DEP_3) | instskip(NEXT) | instid1(VALU_DEP_3)
	v_cndmask_b32_e64 v34, 0, 1, s1
	s_or_b32 vcc_lo, s0, s3
	s_mov_b32 s0, exec_lo
	s_delay_alu instid0(VALU_DEP_1) | instskip(NEXT) | instid1(VALU_DEP_1)
	v_cndmask_b32_e32 v34, v36, v34, vcc_lo
	v_and_b32_e32 v34, 1, v34
	s_delay_alu instid0(VALU_DEP_1)
	v_cmpx_eq_u32_e32 1, v34
	s_cbranch_execz .LBB0_45
; %bb.44:
	v_mul_hi_u32 v34, 0x13b13b14, v37
	s_add_i32 s0, 0, 0x3a80
	v_mul_hi_u32 v0, 0x2302303, v0
	s_delay_alu instid0(VALU_DEP_2) | instskip(NEXT) | instid1(VALU_DEP_2)
	v_mul_u32_u24_e32 v34, 13, v34
	v_mul_u32_u24_e32 v0, 0xd0, v0
	s_delay_alu instid0(VALU_DEP_2) | instskip(NEXT) | instid1(VALU_DEP_1)
	v_sub_nc_u32_e32 v34, v37, v34
	v_add_nc_u32_e32 v36, 0xc3, v34
	v_mul_u32_u24_e32 v37, 15, v34
	s_delay_alu instid0(VALU_DEP_2) | instskip(SKIP_1) | instid1(VALU_DEP_3)
	v_mul_lo_u32 v81, v36, v35
	v_mul_lo_u32 v36, v35, -13
	v_lshlrev_b32_e32 v82, 3, v37
	global_load_b128 v[37:40], v82, s[14:15]
	v_lshrrev_b32_e32 v42, 3, v81
	v_add_nc_u32_e32 v43, v81, v36
	v_and_b32_e32 v41, 63, v81
	s_delay_alu instid0(VALU_DEP_3) | instskip(NEXT) | instid1(VALU_DEP_3)
	v_and_b32_e32 v42, 0x1f8, v42
	v_lshrrev_b32_e32 v44, 9, v43
	v_and_b32_e32 v45, 63, v43
	v_lshrrev_b32_e32 v46, 3, v43
	v_add_nc_u32_e32 v43, v43, v36
	v_add_nc_u32_e32 v47, s0, v42
	v_and_b32_e32 v42, 0x1f8, v44
	v_lshl_add_u32 v41, v41, 3, 0
	v_and_b32_e32 v44, 0x1f8, v46
	v_lshrrev_b32_e32 v46, 9, v43
	v_and_b32_e32 v48, 63, v43
	v_lshrrev_b32_e32 v49, 3, v43
	v_add_nc_u32_e32 v43, v43, v36
	v_add_nc_u32_e32 v50, s0, v42
	v_and_b32_e32 v46, 0x1f8, v46
	v_lshl_add_u32 v45, v45, 3, 0
	v_lshl_add_u32 v52, v48, 3, 0
	v_and_b32_e32 v48, 0x1f8, v49
	v_lshrrev_b32_e32 v49, 9, v43
	v_and_b32_e32 v55, 63, v43
	v_lshrrev_b32_e32 v56, 3, v43
	v_add_nc_u32_e32 v51, s0, v44
	v_add_nc_u32_e32 v83, v43, v36
	ds_load_b64 v[41:42], v41 offset:14976
	ds_load_b64 v[43:44], v47 offset:512
	;; [unrolled: 1-line block ×3, first 2 shown]
	v_add_nc_u32_e32 v50, s0, v46
	v_add_nc_u32_e32 v57, s0, v48
	v_and_b32_e32 v58, 0x1f8, v49
	v_lshl_add_u32 v59, v55, 3, 0
	v_and_b32_e32 v60, 0x1f8, v56
	ds_load_b64 v[45:46], v45 offset:14976
	ds_load_b64 v[47:48], v51 offset:512
	;; [unrolled: 1-line block ×4, first 2 shown]
	v_and_b32_e32 v61, 63, v83
	v_lshrrev_b32_e32 v62, 3, v83
	v_add_nc_u32_e32 v58, s0, v58
	v_add_nc_u32_e32 v63, v83, v36
	;; [unrolled: 1-line block ×3, first 2 shown]
	v_lshl_add_u32 v65, v61, 3, 0
	v_and_b32_e32 v66, 0x1f8, v62
	ds_load_b64 v[51:52], v57 offset:512
	ds_load_b64 v[57:58], v58 offset:1024
	;; [unrolled: 1-line block ×4, first 2 shown]
	v_add_nc_u32_e32 v70, v63, v36
	v_lshrrev_b32_e32 v67, 9, v63
	v_and_b32_e32 v68, 63, v63
	v_lshrrev_b32_e32 v69, 3, v63
	s_waitcnt lgkmcnt(9)
	v_mul_f32_e32 v71, v42, v44
	v_add_nc_u32_e32 v84, v70, v36
	v_mul_f32_e32 v85, v41, v44
	v_and_b32_e32 v79, 0x1f8, v67
	v_lshl_add_u32 v67, v68, 3, 0
	s_waitcnt lgkmcnt(6)
	v_mul_f32_e32 v44, v46, v48
	v_mul_f32_e32 v86, v45, v48
	v_and_b32_e32 v68, 0x1f8, v69
	v_lshrrev_b32_e32 v69, 9, v70
	v_lshrrev_b32_e32 v48, 3, v84
	v_fma_f32 v88, v45, v47, -v44
	v_dual_fmac_f32 v86, v46, v47 :: v_dual_and_b32 v45, 63, v70
	v_lshrrev_b32_e32 v46, 3, v70
	v_lshrrev_b32_e32 v47, 9, v84
	v_add_nc_u32_e32 v66, s0, v66
	v_add_nc_u32_e32 v44, s0, v68
	v_fma_f32 v87, v41, v43, -v71
	v_fmac_f32_e32 v85, v42, v43
	v_and_b32_e32 v43, 0x1f8, v69
	ds_load_b64 v[63:64], v65 offset:14976
	ds_load_b64 v[65:66], v66 offset:512
	s_waitcnt lgkmcnt(5)
	v_mul_f32_e32 v41, v50, v52
	v_mul_f32_e32 v89, v49, v52
	v_lshl_add_u32 v52, v45, 3, 0
	v_and_b32_e32 v68, 0x1f8, v46
	v_and_b32_e32 v69, 0x1f8, v47
	;; [unrolled: 1-line block ×3, first 2 shown]
	ds_load_b64 v[45:46], v67 offset:14976
	ds_load_b64 v[47:48], v44 offset:512
	v_and_b32_e32 v70, 63, v84
	v_add_nc_u32_e32 v43, s0, v43
	v_add_nc_u32_e32 v44, s0, v68
	;; [unrolled: 1-line block ×4, first 2 shown]
	v_lshl_add_u32 v75, v70, 3, 0
	ds_load_b64 v[67:68], v43 offset:1024
	ds_load_b64 v[69:70], v52 offset:14976
	;; [unrolled: 1-line block ×6, first 2 shown]
	s_waitcnt lgkmcnt(10)
	v_mul_f32_e32 v42, v60, v62
	v_dual_mul_f32 v62, v59, v62 :: v_dual_add_nc_u32 v43, s0, v79
	v_fma_f32 v90, v49, v51, -v41
	v_fmac_f32_e32 v89, v50, v51
	s_delay_alu instid0(VALU_DEP_4)
	v_fma_f32 v91, v59, v61, -v42
	s_waitcnt lgkmcnt(8)
	v_mul_f32_e32 v41, v64, v66
	v_mul_f32_e32 v66, v63, v66
	v_fmac_f32_e32 v62, v60, v61
	global_load_b64 v[59:60], v82, s[14:15] offset:112
	ds_load_b64 v[79:80], v43 offset:1024
	v_fma_f32 v61, v63, v65, -v41
	global_load_b128 v[41:44], v82, s[14:15] offset:96
	s_waitcnt lgkmcnt(7)
	v_dual_mul_f32 v49, v46, v48 :: v_dual_fmac_f32 v66, v64, v65
	v_mul_f32_e32 v63, v45, v48
	s_waitcnt lgkmcnt(4)
	v_mul_f32_e32 v65, v69, v72
	s_delay_alu instid0(VALU_DEP_3)
	v_fma_f32 v64, v45, v47, -v49
	v_mul_f32_e32 v45, v70, v72
	v_fmac_f32_e32 v63, v46, v47
	s_waitcnt lgkmcnt(1)
	v_mul_f32_e32 v49, v76, v78
	v_dual_fmac_f32 v65, v70, v71 :: v_dual_mul_f32 v72, v75, v78
	v_fma_f32 v69, v69, v71, -v45
	global_load_b128 v[45:48], v82, s[14:15] offset:16
	v_fma_f32 v70, v75, v77, -v49
	global_load_b128 v[49:52], v82, s[14:15] offset:64
	v_fmac_f32_e32 v72, v76, v77
	s_waitcnt vmcnt(3)
	v_mul_f32_e32 v71, v32, v60
	v_mul_f32_e32 v60, v31, v60
	s_waitcnt vmcnt(2)
	v_mul_f32_e32 v75, v30, v44
	s_delay_alu instid0(VALU_DEP_3) | instskip(NEXT) | instid1(VALU_DEP_3)
	v_fmac_f32_e32 v71, v31, v59
	v_fma_f32 v31, v32, v59, -v60
	v_mul_f32_e32 v32, v29, v44
	v_mul_f32_e32 v44, v17, v40
	s_waitcnt lgkmcnt(0)
	v_dual_fmac_f32 v75, v29, v43 :: v_dual_mul_f32 v60, v63, v80
	s_delay_alu instid0(VALU_DEP_3) | instskip(SKIP_2) | instid1(VALU_DEP_4)
	v_fma_f32 v29, v30, v43, -v32
	v_mul_f32_e32 v30, v18, v40
	v_fma_f32 v44, v18, v39, -v44
	v_fma_f32 v60, v79, v64, -v60
	s_waitcnt vmcnt(1)
	v_mul_f32_e32 v32, v19, v46
	v_mul_f32_e32 v40, v20, v46
	s_waitcnt vmcnt(0)
	v_dual_fmac_f32 v30, v17, v39 :: v_dual_mul_f32 v39, v22, v52
	v_mul_f32_e32 v43, v21, v52
	v_fma_f32 v32, v20, v45, -v32
	v_fmac_f32_e32 v40, v19, v45
	global_load_b128 v[17:20], v82, s[14:15] offset:80
	v_fmac_f32_e32 v39, v21, v51
	v_fma_f32 v43, v22, v51, -v43
	s_waitcnt vmcnt(0)
	v_mul_f32_e32 v21, v23, v18
	v_mul_f32_e32 v46, v24, v18
	s_delay_alu instid0(VALU_DEP_2) | instskip(NEXT) | instid1(VALU_DEP_2)
	v_fma_f32 v45, v24, v17, -v21
	v_fmac_f32_e32 v46, v23, v17
	global_load_b128 v[21:24], v82, s[14:15] offset:32
	s_waitcnt vmcnt(0)
	v_mul_f32_e32 v51, v26, v24
	v_mul_f32_e32 v17, v25, v24
	s_delay_alu instid0(VALU_DEP_2) | instskip(NEXT) | instid1(VALU_DEP_2)
	v_fmac_f32_e32 v51, v25, v23
	v_fma_f32 v52, v26, v23, -v17
	global_load_b128 v[23:26], v82, s[14:15] offset:48
	s_waitcnt vmcnt(0)
	v_mul_f32_e32 v59, v28, v24
	v_mul_f32_e32 v17, v27, v24
	s_delay_alu instid0(VALU_DEP_2) | instskip(NEXT) | instid1(VALU_DEP_2)
	v_fmac_f32_e32 v59, v27, v23
	v_fma_f32 v23, v28, v23, -v17
	v_lshrrev_b32_e32 v17, 9, v81
	s_delay_alu instid0(VALU_DEP_1) | instskip(NEXT) | instid1(VALU_DEP_1)
	v_and_b32_e32 v17, 0x1f8, v17
	v_add_nc_u32_e32 v17, s0, v17
	ds_load_b64 v[17:18], v17 offset:1024
	s_waitcnt lgkmcnt(0)
	v_mul_f32_e32 v24, v85, v18
	v_mul_f32_e32 v27, v87, v18
	s_delay_alu instid0(VALU_DEP_2) | instskip(NEXT) | instid1(VALU_DEP_2)
	v_fma_f32 v24, v17, v87, -v24
	v_fmac_f32_e32 v27, v17, v85
	v_mul_f32_e32 v17, v86, v54
	v_mul_f32_e32 v54, v88, v54
	s_delay_alu instid0(VALU_DEP_2) | instskip(SKIP_1) | instid1(VALU_DEP_3)
	v_fma_f32 v28, v53, v88, -v17
	v_mul_f32_e32 v17, v89, v56
	v_fmac_f32_e32 v54, v53, v86
	v_mul_f32_e32 v56, v90, v56
	s_delay_alu instid0(VALU_DEP_3) | instskip(NEXT) | instid1(VALU_DEP_2)
	v_fma_f32 v53, v55, v90, -v17
	v_dual_mul_f32 v17, v62, v58 :: v_dual_fmac_f32 v56, v55, v89
	v_mul_f32_e32 v58, v91, v58
	s_delay_alu instid0(VALU_DEP_2) | instskip(SKIP_1) | instid1(VALU_DEP_3)
	v_fma_f32 v55, v57, v91, -v17
	v_lshrrev_b32_e32 v17, 9, v83
	v_fmac_f32_e32 v58, v57, v62
	v_add_nc_u32_e32 v62, v84, v36
	s_delay_alu instid0(VALU_DEP_3) | instskip(NEXT) | instid1(VALU_DEP_1)
	v_and_b32_e32 v17, 0x1f8, v17
	v_add_nc_u32_e32 v17, s0, v17
	ds_load_b64 v[17:18], v17 offset:1024
	s_waitcnt lgkmcnt(0)
	v_mul_f32_e32 v57, v66, v18
	v_mul_f32_e32 v18, v61, v18
	s_delay_alu instid0(VALU_DEP_2) | instskip(NEXT) | instid1(VALU_DEP_2)
	v_fma_f32 v57, v17, v61, -v57
	v_dual_fmac_f32 v18, v17, v66 :: v_dual_mul_f32 v61, v64, v80
	v_or_b32_e32 v17, v0, v34
	v_mul_f32_e32 v0, v65, v68
	v_mul_f32_e32 v68, v69, v68
	s_delay_alu instid0(VALU_DEP_4) | instskip(SKIP_1) | instid1(VALU_DEP_4)
	v_dual_fmac_f32 v61, v79, v63 :: v_dual_and_b32 v64, 63, v62
	v_lshrrev_b32_e32 v63, 9, v62
	v_fma_f32 v76, v67, v69, -v0
	s_delay_alu instid0(VALU_DEP_4)
	v_fmac_f32_e32 v68, v67, v65
	v_lshrrev_b32_e32 v66, 3, v62
	v_add_nc_u32_e32 v62, v62, v36
	v_dual_mul_f32 v65, v3, v38 :: v_dual_and_b32 v0, 0x1f8, v63
	v_mul_f32_e32 v38, v4, v38
	v_lshl_add_u32 v63, v64, 3, 0
	s_delay_alu instid0(VALU_DEP_2)
	v_dual_fmac_f32 v38, v3, v37 :: v_dual_mul_f32 v3, v16, v50
	v_and_b32_e32 v64, 0x1f8, v66
	v_add_nc_u32_e32 v66, s0, v0
	v_mul_f32_e32 v0, v15, v50
	v_fma_f32 v4, v4, v37, -v65
	v_dual_mul_f32 v50, v10, v48 :: v_dual_mul_f32 v65, v12, v22
	v_fmac_f32_e32 v3, v15, v49
	v_mul_f32_e32 v15, v11, v22
	v_mul_f32_e32 v22, v8, v42
	v_dual_mul_f32 v37, v13, v26 :: v_dual_add_nc_u32 v64, s0, v64
	v_fmac_f32_e32 v65, v11, v21
	s_delay_alu instid0(VALU_DEP_4) | instskip(SKIP_4) | instid1(VALU_DEP_4)
	v_fma_f32 v11, v12, v21, -v15
	v_dual_mul_f32 v12, v14, v26 :: v_dual_mul_f32 v15, v9, v48
	v_fma_f32 v0, v16, v49, -v0
	v_mul_f32_e32 v16, v6, v20
	v_dual_fmac_f32 v50, v9, v47 :: v_dual_sub_f32 v21, v40, v46
	v_dual_fmac_f32 v12, v13, v25 :: v_dual_sub_f32 v13, v51, v75
	s_delay_alu instid0(VALU_DEP_3) | instskip(SKIP_3) | instid1(VALU_DEP_4)
	v_fmac_f32_e32 v16, v5, v19
	v_mul_f32_e32 v42, v7, v42
	v_mul_f32_e32 v20, v5, v20
	v_dual_fmac_f32 v22, v7, v41 :: v_dual_sub_f32 v3, v38, v3
	v_sub_f32_e32 v9, v50, v16
	s_delay_alu instid0(VALU_DEP_4)
	v_fma_f32 v5, v8, v41, -v42
	v_fma_f32 v14, v14, v25, -v37
	;; [unrolled: 1-line block ×3, first 2 shown]
	v_sub_f32_e32 v15, v52, v29
	v_fma_f32 v6, v6, v19, -v20
	v_dual_sub_f32 v5, v11, v5 :: v_dual_sub_f32 v16, v65, v22
	v_sub_f32_e32 v22, v23, v31
	v_sub_f32_e32 v0, v4, v0
	;; [unrolled: 1-line block ×3, first 2 shown]
	s_delay_alu instid0(VALU_DEP_4) | instskip(SKIP_1) | instid1(VALU_DEP_4)
	v_dual_add_f32 v41, v3, v5 :: v_dual_sub_f32 v8, v2, v14
	v_fma_f32 v5, v11, 2.0, -v5
	v_dual_sub_f32 v31, v0, v16 :: v_dual_sub_f32 v14, v30, v39
	v_fma_f32 v11, v40, 2.0, -v21
	s_delay_alu instid0(VALU_DEP_4)
	v_sub_f32_e32 v25, v8, v9
	v_fma_f32 v9, v50, 2.0, -v9
	v_fma_f32 v16, v65, 2.0, -v16
	v_dual_add_f32 v29, v14, v15 :: v_dual_sub_f32 v12, v1, v12
	v_fma_f32 v15, v52, 2.0, -v15
	v_fma_f32 v32, v32, 2.0, -v19
	;; [unrolled: 1-line block ×5, first 2 shown]
	s_delay_alu instid0(VALU_DEP_1)
	v_sub_f32_e32 v9, v1, v9
	v_add_f32_e32 v39, v21, v22
	v_fma_f32 v4, v4, 2.0, -v0
	v_sub_f32_e32 v20, v59, v71
	v_fma_f32 v22, v23, 2.0, -v22
	v_fma_f32 v0, v0, 2.0, -v31
	;; [unrolled: 1-line block ×3, first 2 shown]
	v_sub_f32_e32 v5, v4, v5
	v_dual_sub_f32 v10, v44, v43 :: v_dual_sub_f32 v37, v19, v20
	v_fmamk_f32 v43, v39, 0x3f3504f3, v41
	v_sub_f32_e32 v6, v7, v6
	v_fma_f32 v20, v59, 2.0, -v20
	s_delay_alu instid0(VALU_DEP_4)
	v_fma_f32 v23, v44, 2.0, -v10
	v_sub_f32_e32 v26, v10, v13
	v_fma_f32 v13, v51, 2.0, -v13
	v_dual_fmac_f32 v43, 0x3f3504f3, v37 :: v_dual_add_f32 v42, v12, v6
	v_fma_f32 v6, v7, 2.0, -v6
	v_fma_f32 v7, v30, 2.0, -v14
	;; [unrolled: 1-line block ×5, first 2 shown]
	v_sub_f32_e32 v15, v23, v15
	s_delay_alu instid0(VALU_DEP_4) | instskip(NEXT) | instid1(VALU_DEP_4)
	v_dual_sub_f32 v13, v7, v13 :: v_dual_sub_f32 v16, v30, v16
	v_fmamk_f32 v47, v21, 0xbf3504f3, v3
	v_fmamk_f32 v44, v29, 0x3f3504f3, v42
	v_sub_f32_e32 v6, v2, v6
	v_fmamk_f32 v40, v37, 0x3f3504f3, v31
	v_fma_f32 v10, v10, 2.0, -v26
	s_delay_alu instid0(VALU_DEP_4)
	v_dual_fmac_f32 v47, 0x3f3504f3, v19 :: v_dual_fmac_f32 v44, 0x3f3504f3, v26
	v_sub_f32_e32 v20, v11, v20
	v_sub_f32_e32 v22, v32, v22
	v_fma_f32 v14, v14, 2.0, -v29
	v_fma_f32 v12, v12, 2.0, -v42
	v_fmamk_f32 v49, v43, 0x3f6c835e, v44
	v_fmamk_f32 v38, v26, 0x3f3504f3, v25
	v_sub_f32_e32 v37, v6, v13
	v_fmamk_f32 v45, v10, 0xbf3504f3, v8
	v_fma_f32 v30, v30, 2.0, -v16
	v_fma_f32 v11, v11, 2.0, -v20
	v_dual_fmac_f32 v38, 0xbf3504f3, v29 :: v_dual_add_f32 v29, v16, v22
	s_delay_alu instid0(VALU_DEP_4)
	v_fmac_f32_e32 v45, 0xbf3504f3, v14
	v_fma_f32 v1, v1, 2.0, -v9
	v_fma_f32 v7, v7, 2.0, -v13
	;; [unrolled: 1-line block ×4, first 2 shown]
	v_fmac_f32_e32 v40, 0xbf3504f3, v39
	v_add_f32_e32 v39, v9, v15
	v_fma_f32 v2, v2, 2.0, -v6
	v_fma_f32 v15, v23, 2.0, -v15
	v_dual_fmamk_f32 v46, v19, 0xbf3504f3, v0 :: v_dual_sub_f32 v59, v1, v7
	s_delay_alu instid0(VALU_DEP_4) | instskip(SKIP_1) | instid1(VALU_DEP_4)
	v_fmamk_f32 v51, v29, 0x3f3504f3, v39
	v_dual_sub_f32 v7, v4, v13 :: v_dual_fmamk_f32 v48, v14, 0xbf3504f3, v12
	v_dual_sub_f32 v52, v2, v15 :: v_dual_fmac_f32 v49, 0x3ec3ef15, v40
	v_fmamk_f32 v32, v40, 0x3f6c835e, v38
	v_sub_f32_e32 v14, v30, v11
	v_sub_f32_e32 v26, v5, v20
	v_fma_f32 v65, v25, 2.0, -v38
	v_fma_f32 v11, v41, 2.0, -v43
	v_fma_f32 v67, v6, 2.0, -v37
	v_dual_add_f32 v69, v59, v7 :: v_dual_fmac_f32 v48, 0x3f3504f3, v10
	v_fma_f32 v10, v31, 2.0, -v40
	v_fma_f32 v82, v1, 2.0, -v59
	v_mul_f32_e32 v1, v49, v27
	v_dual_fmac_f32 v32, 0xbec3ef15, v43 :: v_dual_sub_f32 v43, v52, v14
	s_delay_alu instid0(VALU_DEP_4)
	v_fmamk_f32 v71, v10, 0xbec3ef15, v65
	v_fma_f32 v5, v5, 2.0, -v26
	v_fmac_f32_e32 v46, 0xbf3504f3, v21
	v_fma_f32 v41, v42, 2.0, -v44
	v_fmac_f32_e32 v51, 0x3f3504f3, v26
	v_fmamk_f32 v50, v26, 0x3f3504f3, v37
	v_fmamk_f32 v42, v47, 0x3ec3ef15, v48
	;; [unrolled: 1-line block ×3, first 2 shown]
	v_fma_f32 v81, v2, 2.0, -v52
	v_fma_f32 v15, v4, 2.0, -v7
	v_fmamk_f32 v40, v46, 0x3ec3ef15, v45
	v_fma_f32 v6, v16, 2.0, -v29
	v_fma_f32 v16, v9, 2.0, -v39
	;; [unrolled: 1-line block ×3, first 2 shown]
	v_dual_mul_f32 v3, v51, v54 :: v_dual_fmac_f32 v50, 0xbf3504f3, v29
	v_dual_mul_f32 v7, v69, v58 :: v_dual_fmac_f32 v40, 0xbf6c835e, v47
	v_mul_f32_e32 v25, v72, v74
	v_fmac_f32_e32 v42, 0x3f6c835e, v46
	v_fmamk_f32 v75, v11, 0xbec3ef15, v41
	v_dual_fmamk_f32 v78, v6, 0xbf3504f3, v16 :: v_dual_fmac_f32 v77, 0xbf3504f3, v6
	v_dual_mul_f32 v2, v50, v54 :: v_dual_fmac_f32 v71, 0xbf6c835e, v11
	s_delay_alu instid0(VALU_DEP_4)
	v_mul_f32_e32 v11, v42, v56
	v_mul_f32_e32 v6, v40, v56
	v_fma_f32 v9, v0, 2.0, -v46
	v_dual_mul_f32 v0, v32, v27 :: v_dual_fmac_f32 v75, 0x3f6c835e, v10
	v_fma_f32 v14, v30, 2.0, -v14
	v_fmac_f32_e32 v78, 0x3f3504f3, v5
	v_fma_f32 v5, v43, v55, -v7
	v_fma_f32 v7, v40, v53, -v11
	v_dual_fmac_f32 v6, v42, v53 :: v_dual_sub_f32 v53, v81, v15
	v_lshrrev_b32_e32 v15, 9, v62
	v_mul_f32_e32 v4, v43, v58
	v_add_nc_u32_e32 v46, v62, v36
	v_fma_f32 v79, v8, 2.0, -v45
	v_fma_f32 v80, v12, 2.0, -v48
	v_fmac_f32_e32 v0, v49, v24
	v_mul_f32_e32 v12, v75, v18
	v_dual_mul_f32 v8, v71, v18 :: v_dual_and_b32 v15, 0x1f8, v15
	v_lshrrev_b32_e32 v56, 9, v46
	v_dual_fmac_f32 v4, v69, v55 :: v_dual_sub_f32 v55, v82, v14
	v_mul_f32_e32 v18, v78, v61
	v_lshrrev_b32_e32 v14, 3, v62
	v_fmamk_f32 v54, v9, 0xbf6c835e, v79
	v_fma_f32 v1, v32, v24, -v1
	v_mul_f32_e32 v24, v70, v74
	v_fma_f32 v11, v77, v60, -v18
	ds_load_b64 v[18:19], v66 offset:1024
	ds_load_b64 v[20:21], v63 offset:14976
	;; [unrolled: 1-line block ×3, first 2 shown]
	v_fma_f32 v30, v73, v70, -v25
	v_and_b32_e32 v25, 63, v62
	v_and_b32_e32 v26, 0x1f8, v14
	v_dual_fmac_f32 v24, v73, v72 :: v_dual_add_nc_u32 v15, s0, v15
	v_fma_f32 v3, v50, v28, -v3
	s_delay_alu instid0(VALU_DEP_4)
	v_lshl_add_u32 v27, v25, 3, 0
	v_fmac_f32_e32 v2, v51, v28
	v_add_nc_u32_e32 v28, s0, v26
	v_dual_fmamk_f32 v58, v13, 0xbf6c835e, v80 :: v_dual_mul_f32 v31, v55, v24
	v_mul_f32_e32 v14, v53, v24
	ds_load_b64 v[24:25], v15 offset:1024
	ds_load_b64 v[26:27], v27 offset:14976
	;; [unrolled: 1-line block ×3, first 2 shown]
	v_fma_f32 v42, v48, 2.0, -v42
	v_fma_f32 v15, v53, v30, -v31
	v_fmac_f32_e32 v14, v55, v30
	v_fma_f32 v30, v38, 2.0, -v32
	v_fma_f32 v38, v44, 2.0, -v49
	s_waitcnt lgkmcnt(3)
	v_mul_f32_e32 v47, v20, v23
	v_mul_f32_e32 v23, v21, v23
	v_fma_f32 v45, v45, 2.0, -v40
	v_fma_f32 v16, v16, 2.0, -v78
	s_delay_alu instid0(VALU_DEP_4) | instskip(NEXT) | instid1(VALU_DEP_4)
	v_fmac_f32_e32 v47, v21, v22
	v_fma_f32 v20, v20, v22, -v23
	v_dual_mul_f32 v10, v77, v61 :: v_dual_and_b32 v21, 0x1f8, v56
	s_delay_alu instid0(VALU_DEP_3) | instskip(NEXT) | instid1(VALU_DEP_3)
	v_dual_mul_f32 v23, v47, v19 :: v_dual_and_b32 v22, 63, v46
	v_dual_mul_f32 v31, v20, v19 :: v_dual_fmac_f32 v58, 0x3ec3ef15, v9
	s_delay_alu instid0(VALU_DEP_3) | instskip(NEXT) | instid1(VALU_DEP_3)
	v_add_nc_u32_e32 v19, s0, v21
	v_lshl_add_u32 v21, v22, 3, 0
	s_delay_alu instid0(VALU_DEP_4) | instskip(NEXT) | instid1(VALU_DEP_4)
	v_fma_f32 v32, v18, v20, -v23
	v_fmac_f32_e32 v31, v18, v47
	v_lshrrev_b32_e32 v23, 3, v46
	v_fmac_f32_e32 v54, 0xbec3ef15, v13
	s_waitcnt lgkmcnt(0)
	v_mul_f32_e32 v44, v27, v29
	v_mul_f32_e32 v29, v26, v29
	;; [unrolled: 1-line block ×4, first 2 shown]
	v_and_b32_e32 v31, 0x1f8, v23
	v_fma_f32 v44, v26, v28, -v44
	v_fmac_f32_e32 v29, v27, v28
	v_fma_f32 v9, v71, v57, -v12
	v_mul_f32_e32 v12, v54, v68
	v_add_nc_u32_e32 v26, s0, v31
	ds_load_b64 v[18:19], v19 offset:1024
	ds_load_b64 v[20:21], v21 offset:14976
	v_mul_f32_e32 v27, v44, v25
	v_mul_f32_e32 v28, v29, v25
	v_fmac_f32_e32 v10, v78, v60
	ds_load_b64 v[25:26], v26 offset:512
	v_fma_f32 v23, v30, v32, -v47
	v_fmac_f32_e32 v27, v24, v29
	v_fma_f32 v24, v24, v44, -v28
	v_fmac_f32_e32 v22, v38, v32
	v_fma_f32 v31, v39, 2.0, -v51
	v_fma_f32 v32, v37, 2.0, -v50
	v_dual_fmac_f32 v8, v75, v57 :: v_dual_mul_f32 v13, v58, v68
	s_delay_alu instid0(VALU_DEP_3) | instskip(NEXT) | instid1(VALU_DEP_3)
	v_mul_f32_e32 v28, v31, v27
	v_mul_f32_e32 v27, v32, v27
	s_delay_alu instid0(VALU_DEP_3) | instskip(NEXT) | instid1(VALU_DEP_3)
	v_fma_f32 v13, v54, v76, -v13
	v_fma_f32 v28, v32, v24, -v28
	s_waitcnt lgkmcnt(0)
	s_delay_alu instid0(VALU_DEP_3) | instskip(SKIP_1) | instid1(VALU_DEP_2)
	v_dual_fmac_f32 v27, v31, v24 :: v_dual_mul_f32 v44, v20, v26
	v_mul_f32_e32 v26, v21, v26
	v_fmac_f32_e32 v44, v21, v25
	s_delay_alu instid0(VALU_DEP_2) | instskip(NEXT) | instid1(VALU_DEP_1)
	v_fma_f32 v26, v20, v25, -v26
	v_mul_f32_e32 v47, v26, v19
	s_delay_alu instid0(VALU_DEP_1) | instskip(SKIP_1) | instid1(VALU_DEP_1)
	v_fmac_f32_e32 v47, v18, v44
	v_add_nc_u32_e32 v30, v46, v36
	v_lshrrev_b32_e32 v29, 9, v30
	v_add_nc_u32_e32 v24, v30, v36
	v_lshrrev_b32_e32 v37, 3, v30
	s_delay_alu instid0(VALU_DEP_3) | instskip(NEXT) | instid1(VALU_DEP_3)
	v_dual_fmac_f32 v12, v58, v76 :: v_dual_and_b32 v29, 0x1f8, v29
	v_add_nc_u32_e32 v49, v24, v36
	v_mul_f32_e32 v46, v44, v19
	v_fma_f32 v44, v59, 2.0, -v69
	v_and_b32_e32 v38, 63, v30
	v_and_b32_e32 v37, 0x1f8, v37
	v_add_nc_u32_e32 v29, s0, v29
	v_lshrrev_b32_e32 v39, 9, v24
	v_lshrrev_b32_e32 v40, 3, v24
	v_lshl_add_u32 v32, v38, 3, 0
	v_add_nc_u32_e32 v37, s0, v37
	ds_load_b64 v[29:30], v29 offset:1024
	ds_load_b64 v[31:32], v32 offset:14976
	;; [unrolled: 1-line block ×3, first 2 shown]
	v_and_b32_e32 v21, 0x1f8, v39
	v_and_b32_e32 v39, 63, v24
	;; [unrolled: 1-line block ×3, first 2 shown]
	v_lshrrev_b32_e32 v48, 9, v49
	v_fma_f32 v18, v18, v26, -v46
	v_add_nc_u32_e32 v20, s0, v21
	v_lshl_add_u32 v21, v39, 3, 0
	v_add_nc_u32_e32 v39, s0, v40
	ds_load_b64 v[19:20], v20 offset:1024
	ds_load_b64 v[24:25], v21 offset:14976
	;; [unrolled: 1-line block ×3, first 2 shown]
	v_and_b32_e32 v26, 0x1f8, v48
	v_fma_f32 v48, v41, 2.0, -v75
	s_delay_alu instid0(VALU_DEP_2) | instskip(SKIP_3) | instid1(VALU_DEP_2)
	v_add_nc_u32_e32 v26, s0, v26
	s_waitcnt lgkmcnt(3)
	v_mul_f32_e32 v21, v32, v38
	v_mul_f32_e32 v38, v31, v38
	v_fma_f32 v21, v31, v37, -v21
	s_delay_alu instid0(VALU_DEP_2)
	v_fmac_f32_e32 v38, v32, v37
	v_mul_f32_e32 v32, v42, v47
	v_mul_f32_e32 v31, v45, v47
	v_mul_lo_u32 v47, v34, v35
	v_mul_f32_e32 v37, v21, v30
	v_mul_f32_e32 v30, v38, v30
	v_fma_f32 v32, v45, v18, -v32
	v_dual_fmac_f32 v31, v42, v18 :: v_dual_add_nc_u32 v18, v49, v36
	s_delay_alu instid0(VALU_DEP_4)
	v_fmac_f32_e32 v37, v29, v38
	v_fma_f32 v38, v52, 2.0, -v43
	v_fma_f32 v43, v29, v21, -v30
	ds_load_b64 v[29:30], v26 offset:1024
	s_waitcnt lgkmcnt(1)
	v_mul_f32_e32 v26, v24, v40
	v_dual_mul_f32 v40, v25, v40 :: v_dual_mul_f32 v21, v44, v37
	v_lshrrev_b32_e32 v36, 9, v18
	s_delay_alu instid0(VALU_DEP_3) | instskip(NEXT) | instid1(VALU_DEP_3)
	v_fmac_f32_e32 v26, v25, v39
	v_fma_f32 v42, v24, v39, -v40
	s_delay_alu instid0(VALU_DEP_4)
	v_fma_f32 v25, v38, v43, -v21
	v_lshrrev_b32_e32 v21, 3, v49
	v_mul_f32_e32 v24, v38, v37
	v_mul_f32_e32 v45, v26, v20
	;; [unrolled: 1-line block ×3, first 2 shown]
	v_lshrrev_b32_e32 v20, 3, v18
	v_and_b32_e32 v37, 63, v49
	v_and_b32_e32 v21, 0x1f8, v21
	v_and_b32_e32 v36, 0x1f8, v36
	v_and_b32_e32 v18, 63, v18
	v_and_b32_e32 v20, 0x1f8, v20
	v_lshl_add_u32 v37, v37, 3, 0
	v_add_nc_u32_e32 v38, s0, v21
	v_add_nc_u32_e32 v36, s0, v36
	v_lshl_add_u32 v18, v18, 3, 0
	v_add_nc_u32_e32 v40, s0, v20
	ds_load_b64 v[20:21], v37 offset:14976
	ds_load_b64 v[34:35], v38 offset:512
	ds_load_b64 v[36:37], v36 offset:1024
	ds_load_b64 v[38:39], v18 offset:14976
	ds_load_b64 v[40:41], v40 offset:512
	v_fmac_f32_e32 v46, v19, v26
	v_lshrrev_b32_e32 v26, 9, v47
	v_fma_f32 v49, v19, v42, -v45
	v_lshrrev_b32_e32 v19, 3, v47
	v_fmac_f32_e32 v24, v44, v43
	v_and_b32_e32 v43, 63, v47
	v_and_b32_e32 v26, 0x1f8, v26
	v_fma_f32 v18, v65, 2.0, -v71
	v_mul_f32_e32 v42, v48, v46
	v_and_b32_e32 v44, 0x1f8, v19
	v_lshl_add_u32 v45, v43, 3, 0
	v_add_nc_u32_e32 v26, s0, v26
	s_delay_alu instid0(VALU_DEP_4)
	v_fma_f32 v19, v18, v49, -v42
	v_mul_f32_e32 v18, v18, v46
	v_add_nc_u32_e32 v46, s0, v44
	ds_load_b64 v[42:43], v26 offset:1024
	ds_load_b64 v[44:45], v45 offset:14976
	;; [unrolled: 1-line block ×3, first 2 shown]
	s_waitcnt lgkmcnt(6)
	v_mul_f32_e32 v50, v21, v35
	s_waitcnt lgkmcnt(3)
	v_dual_mul_f32 v35, v20, v35 :: v_dual_mul_f32 v26, v39, v41
	v_fmac_f32_e32 v18, v48, v49
	s_delay_alu instid0(VALU_DEP_3) | instskip(NEXT) | instid1(VALU_DEP_3)
	v_fma_f32 v20, v20, v34, -v50
	v_fmac_f32_e32 v35, v21, v34
	v_mul_f32_e32 v21, v38, v41
	v_fma_f32 v26, v38, v40, -v26
	v_fma_f32 v34, v67, 2.0, -v77
	v_mul_f32_e32 v38, v20, v30
	v_mul_f32_e32 v30, v35, v30
	v_fmac_f32_e32 v21, v39, v40
	s_delay_alu instid0(VALU_DEP_3) | instskip(NEXT) | instid1(VALU_DEP_3)
	v_dual_mul_f32 v39, v26, v37 :: v_dual_fmac_f32 v38, v29, v35
	v_fma_f32 v29, v29, v20, -v30
	s_delay_alu instid0(VALU_DEP_3) | instskip(NEXT) | instid1(VALU_DEP_3)
	v_mul_f32_e32 v30, v21, v37
	v_fmac_f32_e32 v39, v36, v21
	v_fma_f32 v35, v80, 2.0, -v58
	v_mul_f32_e32 v21, v16, v38
	v_mul_f32_e32 v20, v34, v38
	v_fma_f32 v26, v36, v26, -v30
	v_fma_f32 v36, v79, 2.0, -v54
	s_waitcnt lgkmcnt(0)
	v_mul_f32_e32 v37, v44, v47
	v_fma_f32 v21, v34, v29, -v21
	v_mul_f32_e32 v34, v45, v47
	v_fmac_f32_e32 v20, v16, v29
	v_add_nc_u32_e32 v16, s2, v33
	v_mul_f32_e32 v30, v39, v35
	v_mul_f32_e32 v29, v39, v36
	v_fma_f32 v38, v44, v46, -v34
	v_fmac_f32_e32 v37, v46, v45
	v_mad_u64_u32 v[33:34], null, s8, v17, v[16:17]
	s_delay_alu instid0(VALU_DEP_3) | instskip(SKIP_1) | instid1(VALU_DEP_4)
	v_dual_mov_b32 v34, 0 :: v_dual_mul_f32 v39, v43, v38
	v_fma_f32 v30, v26, v36, -v30
	v_dual_fmac_f32 v29, v26, v35 :: v_dual_mul_f32 v26, v43, v37
	v_fma_f32 v44, v82, 2.0, -v55
	s_delay_alu instid0(VALU_DEP_4)
	v_fmac_f32_e32 v39, v42, v37
	v_fma_f32 v45, v81, 2.0, -v53
	v_lshlrev_b64 v[35:36], 3, v[33:34]
	v_add_nc_u32_e32 v33, 13, v17
	v_fma_f32 v26, v42, v38, -v26
	v_add_nc_u32_e32 v42, 26, v17
	v_mul_f32_e32 v46, v44, v39
	v_mul_f32_e32 v37, v45, v39
	v_mad_u64_u32 v[38:39], null, s8, v33, v[16:17]
	v_mov_b32_e32 v39, v34
	v_mad_u64_u32 v[40:41], null, s8, v42, v[16:17]
	v_mov_b32_e32 v41, v34
	v_add_co_u32 v35, vcc_lo, s12, v35
	s_delay_alu instid0(VALU_DEP_4)
	v_lshlrev_b64 v[42:43], 3, v[38:39]
	v_fma_f32 v38, v45, v26, -v46
	v_fmac_f32_e32 v37, v44, v26
	v_lshlrev_b64 v[39:40], 3, v[40:41]
	v_add_nc_u32_e32 v26, 39, v17
	v_add_co_ci_u32_e32 v36, vcc_lo, s13, v36, vcc_lo
	v_add_co_u32 v41, vcc_lo, s12, v42
	v_add_co_ci_u32_e32 v42, vcc_lo, s13, v43, vcc_lo
	s_delay_alu instid0(VALU_DEP_4)
	v_mad_u64_u32 v[43:44], null, s8, v26, v[16:17]
	v_add_co_u32 v39, vcc_lo, s12, v39
	v_add_co_ci_u32_e32 v40, vcc_lo, s13, v40, vcc_lo
	v_mov_b32_e32 v44, v34
	v_add_nc_u32_e32 v26, 52, v17
	s_clause 0x2
	global_store_b64 v[35:36], v[37:38], off
	global_store_b64 v[41:42], v[29:30], off
	;; [unrolled: 1-line block ×3, first 2 shown]
	v_add_nc_u32_e32 v33, 0x41, v17
	v_lshlrev_b64 v[20:21], 3, v[43:44]
	v_mad_u64_u32 v[29:30], null, s8, v26, v[16:17]
	v_mov_b32_e32 v30, v34
	s_delay_alu instid0(VALU_DEP_4) | instskip(NEXT) | instid1(VALU_DEP_4)
	v_mad_u64_u32 v[35:36], null, s8, v33, v[16:17]
	v_add_co_u32 v20, vcc_lo, s12, v20
	v_add_co_ci_u32_e32 v21, vcc_lo, s13, v21, vcc_lo
	v_mov_b32_e32 v36, v34
	v_add_nc_u32_e32 v26, 0x4e, v17
	v_lshlrev_b64 v[29:30], 3, v[29:30]
	global_store_b64 v[20:21], v[18:19], off
	v_lshlrev_b64 v[18:19], 3, v[35:36]
	v_mad_u64_u32 v[37:38], null, s8, v26, v[16:17]
	v_add_nc_u32_e32 v26, 0x5b, v17
	v_add_co_u32 v20, vcc_lo, s12, v29
	v_add_co_ci_u32_e32 v21, vcc_lo, s13, v30, vcc_lo
	v_mov_b32_e32 v38, v34
	v_add_co_u32 v18, vcc_lo, s12, v18
	v_mad_u64_u32 v[35:36], null, s8, v26, v[16:17]
	v_add_co_ci_u32_e32 v19, vcc_lo, s13, v19, vcc_lo
	v_mov_b32_e32 v36, v34
	v_lshlrev_b64 v[29:30], 3, v[37:38]
	s_clause 0x1
	global_store_b64 v[20:21], v[24:25], off
	global_store_b64 v[18:19], v[31:32], off
	v_add_nc_u32_e32 v24, 0x68, v17
	v_add_nc_u32_e32 v26, 0x75, v17
	v_lshlrev_b64 v[18:19], 3, v[35:36]
	v_add_co_u32 v29, vcc_lo, s12, v29
	s_delay_alu instid0(VALU_DEP_4)
	v_mad_u64_u32 v[20:21], null, s8, v24, v[16:17]
	v_add_co_ci_u32_e32 v30, vcc_lo, s13, v30, vcc_lo
	v_mov_b32_e32 v21, v34
	v_mad_u64_u32 v[24:25], null, s8, v26, v[16:17]
	v_add_co_u32 v18, vcc_lo, s12, v18
	v_add_co_ci_u32_e32 v19, vcc_lo, s13, v19, vcc_lo
	v_mov_b32_e32 v25, v34
	global_store_b64 v[29:30], v[27:28], off
	v_add_nc_u32_e32 v28, 0x82, v17
	v_lshlrev_b64 v[20:21], 3, v[20:21]
	global_store_b64 v[18:19], v[22:23], off
	v_lshlrev_b64 v[18:19], 3, v[24:25]
	v_mad_u64_u32 v[26:27], null, s8, v28, v[16:17]
	v_add_co_u32 v20, vcc_lo, s12, v20
	v_mov_b32_e32 v27, v34
	v_add_co_ci_u32_e32 v21, vcc_lo, s13, v21, vcc_lo
	v_add_co_u32 v18, vcc_lo, s12, v18
	v_add_co_ci_u32_e32 v19, vcc_lo, s13, v19, vcc_lo
	s_delay_alu instid0(VALU_DEP_4)
	v_lshlrev_b64 v[22:23], 3, v[26:27]
	v_add_nc_u32_e32 v26, 0x8f, v17
	s_clause 0x1
	global_store_b64 v[20:21], v[14:15], off
	global_store_b64 v[18:19], v[12:13], off
	v_add_nc_u32_e32 v21, 0xc3, v17
	v_add_nc_u32_e32 v14, 0x9c, v17
	;; [unrolled: 1-line block ×4, first 2 shown]
	v_mad_u64_u32 v[24:25], null, s8, v26, v[16:17]
	v_add_co_u32 v22, vcc_lo, s12, v22
	v_add_co_ci_u32_e32 v23, vcc_lo, s13, v23, vcc_lo
	v_mov_b32_e32 v25, v34
	v_mad_u64_u32 v[12:13], null, s8, v14, v[16:17]
	v_mad_u64_u32 v[14:15], null, s8, v18, v[16:17]
	v_mad_u64_u32 v[17:18], null, s8, v19, v[16:17]
	v_mov_b32_e32 v13, v34
	global_store_b64 v[22:23], v[10:11], off
	v_lshlrev_b64 v[10:11], 3, v[24:25]
	v_mov_b32_e32 v15, v34
	v_mov_b32_e32 v18, v34
	v_lshlrev_b64 v[12:13], 3, v[12:13]
	v_mad_u64_u32 v[19:20], null, s8, v21, v[16:17]
	v_add_co_u32 v10, vcc_lo, s12, v10
	v_lshlrev_b64 v[14:15], 3, v[14:15]
	v_mov_b32_e32 v20, v34
	v_add_co_ci_u32_e32 v11, vcc_lo, s13, v11, vcc_lo
	v_add_co_u32 v12, vcc_lo, s12, v12
	v_lshlrev_b64 v[16:17], 3, v[17:18]
	v_add_co_ci_u32_e32 v13, vcc_lo, s13, v13, vcc_lo
	v_add_co_u32 v14, vcc_lo, s12, v14
	v_lshlrev_b64 v[18:19], 3, v[19:20]
	v_add_co_ci_u32_e32 v15, vcc_lo, s13, v15, vcc_lo
	v_add_co_u32 v16, vcc_lo, s12, v16
	v_add_co_ci_u32_e32 v17, vcc_lo, s13, v17, vcc_lo
	s_delay_alu instid0(VALU_DEP_4)
	v_add_co_u32 v18, vcc_lo, s12, v18
	v_add_co_ci_u32_e32 v19, vcc_lo, s13, v19, vcc_lo
	s_clause 0x4
	global_store_b64 v[10:11], v[8:9], off
	global_store_b64 v[12:13], v[4:5], off
	;; [unrolled: 1-line block ×5, first 2 shown]
.LBB0_45:
	s_nop 0
	s_sendmsg sendmsg(MSG_DEALLOC_VGPRS)
	s_endpgm
	.section	.rodata,"a",@progbits
	.p2align	6, 0x0
	.amdhsa_kernel fft_rtc_back_len208_factors_13_16_wgs_144_tpt_16_sp_ip_CI_sbcc_twdbase6_3step_dirReg_intrinsicReadWrite
		.amdhsa_group_segment_fixed_size 0
		.amdhsa_private_segment_fixed_size 0
		.amdhsa_kernarg_size 96
		.amdhsa_user_sgpr_count 15
		.amdhsa_user_sgpr_dispatch_ptr 0
		.amdhsa_user_sgpr_queue_ptr 0
		.amdhsa_user_sgpr_kernarg_segment_ptr 1
		.amdhsa_user_sgpr_dispatch_id 0
		.amdhsa_user_sgpr_private_segment_size 0
		.amdhsa_wavefront_size32 1
		.amdhsa_uses_dynamic_stack 0
		.amdhsa_enable_private_segment 0
		.amdhsa_system_sgpr_workgroup_id_x 1
		.amdhsa_system_sgpr_workgroup_id_y 0
		.amdhsa_system_sgpr_workgroup_id_z 0
		.amdhsa_system_sgpr_workgroup_info 0
		.amdhsa_system_vgpr_workitem_id 0
		.amdhsa_next_free_vgpr 92
		.amdhsa_next_free_sgpr 43
		.amdhsa_reserve_vcc 1
		.amdhsa_float_round_mode_32 0
		.amdhsa_float_round_mode_16_64 0
		.amdhsa_float_denorm_mode_32 3
		.amdhsa_float_denorm_mode_16_64 3
		.amdhsa_dx10_clamp 1
		.amdhsa_ieee_mode 1
		.amdhsa_fp16_overflow 0
		.amdhsa_workgroup_processor_mode 1
		.amdhsa_memory_ordered 1
		.amdhsa_forward_progress 0
		.amdhsa_shared_vgpr_count 0
		.amdhsa_exception_fp_ieee_invalid_op 0
		.amdhsa_exception_fp_denorm_src 0
		.amdhsa_exception_fp_ieee_div_zero 0
		.amdhsa_exception_fp_ieee_overflow 0
		.amdhsa_exception_fp_ieee_underflow 0
		.amdhsa_exception_fp_ieee_inexact 0
		.amdhsa_exception_int_div_zero 0
	.end_amdhsa_kernel
	.text
.Lfunc_end0:
	.size	fft_rtc_back_len208_factors_13_16_wgs_144_tpt_16_sp_ip_CI_sbcc_twdbase6_3step_dirReg_intrinsicReadWrite, .Lfunc_end0-fft_rtc_back_len208_factors_13_16_wgs_144_tpt_16_sp_ip_CI_sbcc_twdbase6_3step_dirReg_intrinsicReadWrite
                                        ; -- End function
	.section	.AMDGPU.csdata,"",@progbits
; Kernel info:
; codeLenInByte = 11160
; NumSgprs: 45
; NumVgprs: 92
; ScratchSize: 0
; MemoryBound: 0
; FloatMode: 240
; IeeeMode: 1
; LDSByteSize: 0 bytes/workgroup (compile time only)
; SGPRBlocks: 5
; VGPRBlocks: 11
; NumSGPRsForWavesPerEU: 45
; NumVGPRsForWavesPerEU: 92
; Occupancy: 15
; WaveLimiterHint : 1
; COMPUTE_PGM_RSRC2:SCRATCH_EN: 0
; COMPUTE_PGM_RSRC2:USER_SGPR: 15
; COMPUTE_PGM_RSRC2:TRAP_HANDLER: 0
; COMPUTE_PGM_RSRC2:TGID_X_EN: 1
; COMPUTE_PGM_RSRC2:TGID_Y_EN: 0
; COMPUTE_PGM_RSRC2:TGID_Z_EN: 0
; COMPUTE_PGM_RSRC2:TIDIG_COMP_CNT: 0
	.text
	.p2alignl 7, 3214868480
	.fill 96, 4, 3214868480
	.type	__hip_cuid_3a1106ec5a2c3fae,@object ; @__hip_cuid_3a1106ec5a2c3fae
	.section	.bss,"aw",@nobits
	.globl	__hip_cuid_3a1106ec5a2c3fae
__hip_cuid_3a1106ec5a2c3fae:
	.byte	0                               ; 0x0
	.size	__hip_cuid_3a1106ec5a2c3fae, 1

	.ident	"AMD clang version 19.0.0git (https://github.com/RadeonOpenCompute/llvm-project roc-6.4.0 25133 c7fe45cf4b819c5991fe208aaa96edf142730f1d)"
	.section	".note.GNU-stack","",@progbits
	.addrsig
	.addrsig_sym __hip_cuid_3a1106ec5a2c3fae
	.amdgpu_metadata
---
amdhsa.kernels:
  - .args:
      - .actual_access:  read_only
        .address_space:  global
        .offset:         0
        .size:           8
        .value_kind:     global_buffer
      - .address_space:  global
        .offset:         8
        .size:           8
        .value_kind:     global_buffer
      - .offset:         16
        .size:           8
        .value_kind:     by_value
      - .actual_access:  read_only
        .address_space:  global
        .offset:         24
        .size:           8
        .value_kind:     global_buffer
      - .actual_access:  read_only
        .address_space:  global
        .offset:         32
        .size:           8
        .value_kind:     global_buffer
      - .offset:         40
        .size:           8
        .value_kind:     by_value
      - .actual_access:  read_only
        .address_space:  global
        .offset:         48
        .size:           8
        .value_kind:     global_buffer
      - .actual_access:  read_only
        .address_space:  global
        .offset:         56
        .size:           8
        .value_kind:     global_buffer
      - .offset:         64
        .size:           4
        .value_kind:     by_value
      - .actual_access:  read_only
        .address_space:  global
        .offset:         72
        .size:           8
        .value_kind:     global_buffer
      - .actual_access:  read_only
        .address_space:  global
        .offset:         80
        .size:           8
        .value_kind:     global_buffer
      - .address_space:  global
        .offset:         88
        .size:           8
        .value_kind:     global_buffer
    .group_segment_fixed_size: 0
    .kernarg_segment_align: 8
    .kernarg_segment_size: 96
    .language:       OpenCL C
    .language_version:
      - 2
      - 0
    .max_flat_workgroup_size: 144
    .name:           fft_rtc_back_len208_factors_13_16_wgs_144_tpt_16_sp_ip_CI_sbcc_twdbase6_3step_dirReg_intrinsicReadWrite
    .private_segment_fixed_size: 0
    .sgpr_count:     45
    .sgpr_spill_count: 0
    .symbol:         fft_rtc_back_len208_factors_13_16_wgs_144_tpt_16_sp_ip_CI_sbcc_twdbase6_3step_dirReg_intrinsicReadWrite.kd
    .uniform_work_group_size: 1
    .uses_dynamic_stack: false
    .vgpr_count:     92
    .vgpr_spill_count: 0
    .wavefront_size: 32
    .workgroup_processor_mode: 1
amdhsa.target:   amdgcn-amd-amdhsa--gfx1100
amdhsa.version:
  - 1
  - 2
...

	.end_amdgpu_metadata
